;; amdgpu-corpus repo=ROCm/rocSPARSE kind=compiled arch=gfx90a opt=O3
	.text
	.amdgcn_target "amdgcn-amd-amdhsa--gfx90a"
	.amdhsa_code_object_version 6
	.section	.text._ZN9rocsparseL19csxsldu_fill_kernelILj1024EL20rocsparse_diag_type_1ELS1_0EiiiEEvT4_PKT3_PKS2_PKT2_21rocsparse_index_base_S5_PS2_PS8_SB_S5_SC_SD_SB_SD_,"axG",@progbits,_ZN9rocsparseL19csxsldu_fill_kernelILj1024EL20rocsparse_diag_type_1ELS1_0EiiiEEvT4_PKT3_PKS2_PKT2_21rocsparse_index_base_S5_PS2_PS8_SB_S5_SC_SD_SB_SD_,comdat
	.globl	_ZN9rocsparseL19csxsldu_fill_kernelILj1024EL20rocsparse_diag_type_1ELS1_0EiiiEEvT4_PKT3_PKS2_PKT2_21rocsparse_index_base_S5_PS2_PS8_SB_S5_SC_SD_SB_SD_ ; -- Begin function _ZN9rocsparseL19csxsldu_fill_kernelILj1024EL20rocsparse_diag_type_1ELS1_0EiiiEEvT4_PKT3_PKS2_PKT2_21rocsparse_index_base_S5_PS2_PS8_SB_S5_SC_SD_SB_SD_
	.p2align	8
	.type	_ZN9rocsparseL19csxsldu_fill_kernelILj1024EL20rocsparse_diag_type_1ELS1_0EiiiEEvT4_PKT3_PKS2_PKT2_21rocsparse_index_base_S5_PS2_PS8_SB_S5_SC_SD_SB_SD_,@function
_ZN9rocsparseL19csxsldu_fill_kernelILj1024EL20rocsparse_diag_type_1ELS1_0EiiiEEvT4_PKT3_PKS2_PKT2_21rocsparse_index_base_S5_PS2_PS8_SB_S5_SC_SD_SB_SD_: ; @_ZN9rocsparseL19csxsldu_fill_kernelILj1024EL20rocsparse_diag_type_1ELS1_0EiiiEEvT4_PKT3_PKS2_PKT2_21rocsparse_index_base_S5_PS2_PS8_SB_S5_SC_SD_SB_SD_
; %bb.0:
	s_load_dword s0, s[4:5], 0x7c
	s_load_dword s1, s[4:5], 0x0
	s_waitcnt lgkmcnt(0)
	s_and_b32 s0, s0, 0xffff
	s_mul_i32 s6, s6, s0
	v_add_u32_e32 v2, s6, v0
	v_cmp_gt_i32_e32 vcc, s1, v2
	s_and_saveexec_b64 s[0:1], vcc
	s_cbranch_execz .LBB0_10
; %bb.1:
	s_load_dwordx4 s[8:11], s[4:5], 0x8
	s_load_dwordx2 s[16:17], s[4:5], 0x18
	s_load_dwordx4 s[0:3], s[4:5], 0x48
	v_ashrrev_i32_e32 v3, 31, v2
	v_lshlrev_b64 v[4:5], 2, v[2:3]
	s_waitcnt lgkmcnt(0)
	v_mov_b32_e32 v1, s9
	v_add_co_u32_e32 v0, vcc, s8, v4
	v_addc_co_u32_e32 v1, vcc, v1, v5, vcc
	global_load_dwordx2 v[6:7], v[0:1], off
	v_mov_b32_e32 v1, s1
	v_add_co_u32_e32 v0, vcc, s0, v4
	v_addc_co_u32_e32 v1, vcc, v1, v5, vcc
	global_load_dword v11, v[0:1], off
	s_load_dword s22, s[4:5], 0x20
	s_load_dwordx2 s[6:7], s[4:5], 0x58
	s_waitcnt vmcnt(1) lgkmcnt(0)
	v_subrev_u32_e32 v0, s22, v6
	v_subrev_u32_e32 v10, s22, v7
	v_cmp_lt_i32_e32 vcc, v6, v7
	s_and_saveexec_b64 s[8:9], vcc
	s_cbranch_execz .LBB0_7
; %bb.2:
	s_load_dwordx4 s[12:15], s[4:5], 0x28
	s_load_dwordx2 s[18:19], s[4:5], 0x38
	s_load_dword s23, s[4:5], 0x40
	v_mov_b32_e32 v8, s17
                                        ; implicit-def: $sgpr0_sgpr1
	s_waitcnt lgkmcnt(0)
	v_mov_b32_e32 v1, s13
	v_add_co_u32_e32 v4, vcc, s12, v4
	v_addc_co_u32_e32 v5, vcc, v1, v5, vcc
	global_load_dword v3, v[4:5], off
	v_ashrrev_i32_e32 v1, 31, v0
	v_lshlrev_b64 v[6:7], 2, v[0:1]
	v_mov_b32_e32 v5, s11
	v_add_co_u32_e32 v4, vcc, s10, v6
	v_addc_co_u32_e32 v5, vcc, v5, v7, vcc
	v_add_co_u32_e32 v6, vcc, s16, v6
	v_addc_co_u32_e32 v7, vcc, v8, v7, vcc
	s_mov_b64 s[12:13], 0
	s_waitcnt vmcnt(0)
	v_subrev_u32_e32 v8, s23, v3
	s_branch .LBB0_4
.LBB0_3:                                ;   in Loop: Header=BB0_4 Depth=1
	s_or_b64 exec, exec, s[20:21]
	s_and_b64 s[20:21], exec, s[0:1]
	s_or_b64 s[12:13], s[20:21], s[12:13]
	s_andn2_b64 exec, exec, s[12:13]
	s_cbranch_execz .LBB0_6
.LBB0_4:                                ; =>This Inner Loop Header: Depth=1
	global_load_dword v1, v[4:5], off
	s_or_b64 s[0:1], s[0:1], exec
	s_waitcnt vmcnt(0)
	v_subrev_u32_e32 v1, s22, v1
	v_cmp_gt_i32_e32 vcc, v2, v1
	s_and_saveexec_b64 s[20:21], vcc
	s_cbranch_execz .LBB0_3
; %bb.5:                                ;   in Loop: Header=BB0_4 Depth=1
	v_ashrrev_i32_e32 v9, 31, v8
	v_lshlrev_b64 v[12:13], 2, v[8:9]
	v_mov_b32_e32 v3, s15
	v_add_co_u32_e32 v14, vcc, s14, v12
	v_addc_co_u32_e32 v15, vcc, v3, v13, vcc
	v_add_u32_e32 v1, s23, v1
	global_store_dword v[14:15], v1, off
	global_load_dword v1, v[6:7], off
	v_add_co_u32_e32 v4, vcc, 4, v4
	v_mov_b32_e32 v3, s19
	v_add_u32_e32 v0, 1, v0
	v_addc_co_u32_e32 v5, vcc, 0, v5, vcc
	s_andn2_b64 s[24:25], s[0:1], exec
	v_add_co_u32_e64 v12, s[0:1], s18, v12
	v_cmp_ge_i32_e32 vcc, v0, v10
	v_addc_co_u32_e64 v13, s[0:1], v3, v13, s[0:1]
	s_and_b64 s[0:1], vcc, exec
	v_add_co_u32_e32 v6, vcc, 4, v6
	v_add_u32_e32 v8, 1, v8
	v_addc_co_u32_e32 v7, vcc, 0, v7, vcc
	s_or_b64 s[0:1], s[24:25], s[0:1]
	s_waitcnt vmcnt(0)
	global_store_dword v[12:13], v1, off
	s_branch .LBB0_3
.LBB0_6:
	s_or_b64 exec, exec, s[12:13]
.LBB0_7:
	s_or_b64 exec, exec, s[8:9]
	v_cmp_lt_i32_e32 vcc, v0, v10
	s_and_b64 exec, exec, vcc
	s_cbranch_execz .LBB0_10
; %bb.8:
	s_load_dword s0, s[4:5], 0x60
	v_ashrrev_i32_e32 v1, 31, v0
	v_lshlrev_b64 v[4:5], 2, v[0:1]
	v_mov_b32_e32 v3, s11
	v_add_co_u32_e32 v2, vcc, s10, v4
	v_addc_co_u32_e32 v3, vcc, v3, v5, vcc
	v_mov_b32_e32 v1, s17
	v_add_co_u32_e32 v4, vcc, s16, v4
	s_waitcnt lgkmcnt(0)
	s_sub_i32 s8, s0, s22
	v_addc_co_u32_e32 v5, vcc, v1, v5, vcc
	s_waitcnt vmcnt(0)
	v_subrev_u32_e32 v6, s0, v11
	s_mov_b64 s[4:5], 0
	v_mov_b32_e32 v1, s3
	v_mov_b32_e32 v8, s7
.LBB0_9:                                ; =>This Inner Loop Header: Depth=1
	global_load_dword v9, v[2:3], off
	v_ashrrev_i32_e32 v7, 31, v6
	v_lshlrev_b64 v[12:13], 2, v[6:7]
	v_add_co_u32_e32 v14, vcc, s2, v12
	v_addc_co_u32_e32 v15, vcc, v1, v13, vcc
	v_add_co_u32_e32 v2, vcc, 4, v2
	v_add_u32_e32 v0, 1, v0
	v_addc_co_u32_e32 v3, vcc, 0, v3, vcc
	v_cmp_ge_i32_e32 vcc, v0, v10
	v_add_co_u32_e64 v12, s[0:1], s6, v12
	s_or_b64 s[4:5], vcc, s[4:5]
	v_add_u32_e32 v6, 1, v6
	v_addc_co_u32_e64 v13, s[0:1], v8, v13, s[0:1]
	s_waitcnt vmcnt(0)
	v_add_u32_e32 v7, s8, v9
	global_store_dword v[14:15], v7, off
	global_load_dword v7, v[4:5], off
	v_add_co_u32_e32 v4, vcc, 4, v4
	v_addc_co_u32_e32 v5, vcc, 0, v5, vcc
	s_waitcnt vmcnt(0)
	global_store_dword v[12:13], v7, off
	s_andn2_b64 exec, exec, s[4:5]
	s_cbranch_execnz .LBB0_9
.LBB0_10:
	s_endpgm
	.section	.rodata,"a",@progbits
	.p2align	6, 0x0
	.amdhsa_kernel _ZN9rocsparseL19csxsldu_fill_kernelILj1024EL20rocsparse_diag_type_1ELS1_0EiiiEEvT4_PKT3_PKS2_PKT2_21rocsparse_index_base_S5_PS2_PS8_SB_S5_SC_SD_SB_SD_
		.amdhsa_group_segment_fixed_size 0
		.amdhsa_private_segment_fixed_size 0
		.amdhsa_kernarg_size 368
		.amdhsa_user_sgpr_count 6
		.amdhsa_user_sgpr_private_segment_buffer 1
		.amdhsa_user_sgpr_dispatch_ptr 0
		.amdhsa_user_sgpr_queue_ptr 0
		.amdhsa_user_sgpr_kernarg_segment_ptr 1
		.amdhsa_user_sgpr_dispatch_id 0
		.amdhsa_user_sgpr_flat_scratch_init 0
		.amdhsa_user_sgpr_kernarg_preload_length 0
		.amdhsa_user_sgpr_kernarg_preload_offset 0
		.amdhsa_user_sgpr_private_segment_size 0
		.amdhsa_uses_dynamic_stack 0
		.amdhsa_system_sgpr_private_segment_wavefront_offset 0
		.amdhsa_system_sgpr_workgroup_id_x 1
		.amdhsa_system_sgpr_workgroup_id_y 0
		.amdhsa_system_sgpr_workgroup_id_z 0
		.amdhsa_system_sgpr_workgroup_info 0
		.amdhsa_system_vgpr_workitem_id 0
		.amdhsa_next_free_vgpr 16
		.amdhsa_next_free_sgpr 26
		.amdhsa_accum_offset 16
		.amdhsa_reserve_vcc 1
		.amdhsa_reserve_flat_scratch 0
		.amdhsa_float_round_mode_32 0
		.amdhsa_float_round_mode_16_64 0
		.amdhsa_float_denorm_mode_32 3
		.amdhsa_float_denorm_mode_16_64 3
		.amdhsa_dx10_clamp 1
		.amdhsa_ieee_mode 1
		.amdhsa_fp16_overflow 0
		.amdhsa_tg_split 0
		.amdhsa_exception_fp_ieee_invalid_op 0
		.amdhsa_exception_fp_denorm_src 0
		.amdhsa_exception_fp_ieee_div_zero 0
		.amdhsa_exception_fp_ieee_overflow 0
		.amdhsa_exception_fp_ieee_underflow 0
		.amdhsa_exception_fp_ieee_inexact 0
		.amdhsa_exception_int_div_zero 0
	.end_amdhsa_kernel
	.section	.text._ZN9rocsparseL19csxsldu_fill_kernelILj1024EL20rocsparse_diag_type_1ELS1_0EiiiEEvT4_PKT3_PKS2_PKT2_21rocsparse_index_base_S5_PS2_PS8_SB_S5_SC_SD_SB_SD_,"axG",@progbits,_ZN9rocsparseL19csxsldu_fill_kernelILj1024EL20rocsparse_diag_type_1ELS1_0EiiiEEvT4_PKT3_PKS2_PKT2_21rocsparse_index_base_S5_PS2_PS8_SB_S5_SC_SD_SB_SD_,comdat
.Lfunc_end0:
	.size	_ZN9rocsparseL19csxsldu_fill_kernelILj1024EL20rocsparse_diag_type_1ELS1_0EiiiEEvT4_PKT3_PKS2_PKT2_21rocsparse_index_base_S5_PS2_PS8_SB_S5_SC_SD_SB_SD_, .Lfunc_end0-_ZN9rocsparseL19csxsldu_fill_kernelILj1024EL20rocsparse_diag_type_1ELS1_0EiiiEEvT4_PKT3_PKS2_PKT2_21rocsparse_index_base_S5_PS2_PS8_SB_S5_SC_SD_SB_SD_
                                        ; -- End function
	.section	.AMDGPU.csdata,"",@progbits
; Kernel info:
; codeLenInByte = 656
; NumSgprs: 30
; NumVgprs: 16
; NumAgprs: 0
; TotalNumVgprs: 16
; ScratchSize: 0
; MemoryBound: 0
; FloatMode: 240
; IeeeMode: 1
; LDSByteSize: 0 bytes/workgroup (compile time only)
; SGPRBlocks: 3
; VGPRBlocks: 1
; NumSGPRsForWavesPerEU: 30
; NumVGPRsForWavesPerEU: 16
; AccumOffset: 16
; Occupancy: 8
; WaveLimiterHint : 0
; COMPUTE_PGM_RSRC2:SCRATCH_EN: 0
; COMPUTE_PGM_RSRC2:USER_SGPR: 6
; COMPUTE_PGM_RSRC2:TRAP_HANDLER: 0
; COMPUTE_PGM_RSRC2:TGID_X_EN: 1
; COMPUTE_PGM_RSRC2:TGID_Y_EN: 0
; COMPUTE_PGM_RSRC2:TGID_Z_EN: 0
; COMPUTE_PGM_RSRC2:TIDIG_COMP_CNT: 0
; COMPUTE_PGM_RSRC3_GFX90A:ACCUM_OFFSET: 3
; COMPUTE_PGM_RSRC3_GFX90A:TG_SPLIT: 0
	.section	.text._ZN9rocsparseL19csxsldu_fill_kernelILj1024EL20rocsparse_diag_type_1ELS1_1EiiiEEvT4_PKT3_PKS2_PKT2_21rocsparse_index_base_S5_PS2_PS8_SB_S5_SC_SD_SB_SD_,"axG",@progbits,_ZN9rocsparseL19csxsldu_fill_kernelILj1024EL20rocsparse_diag_type_1ELS1_1EiiiEEvT4_PKT3_PKS2_PKT2_21rocsparse_index_base_S5_PS2_PS8_SB_S5_SC_SD_SB_SD_,comdat
	.globl	_ZN9rocsparseL19csxsldu_fill_kernelILj1024EL20rocsparse_diag_type_1ELS1_1EiiiEEvT4_PKT3_PKS2_PKT2_21rocsparse_index_base_S5_PS2_PS8_SB_S5_SC_SD_SB_SD_ ; -- Begin function _ZN9rocsparseL19csxsldu_fill_kernelILj1024EL20rocsparse_diag_type_1ELS1_1EiiiEEvT4_PKT3_PKS2_PKT2_21rocsparse_index_base_S5_PS2_PS8_SB_S5_SC_SD_SB_SD_
	.p2align	8
	.type	_ZN9rocsparseL19csxsldu_fill_kernelILj1024EL20rocsparse_diag_type_1ELS1_1EiiiEEvT4_PKT3_PKS2_PKT2_21rocsparse_index_base_S5_PS2_PS8_SB_S5_SC_SD_SB_SD_,@function
_ZN9rocsparseL19csxsldu_fill_kernelILj1024EL20rocsparse_diag_type_1ELS1_1EiiiEEvT4_PKT3_PKS2_PKT2_21rocsparse_index_base_S5_PS2_PS8_SB_S5_SC_SD_SB_SD_: ; @_ZN9rocsparseL19csxsldu_fill_kernelILj1024EL20rocsparse_diag_type_1ELS1_1EiiiEEvT4_PKT3_PKS2_PKT2_21rocsparse_index_base_S5_PS2_PS8_SB_S5_SC_SD_SB_SD_
; %bb.0:
	s_load_dword s0, s[4:5], 0x7c
	s_load_dword s1, s[4:5], 0x0
	s_waitcnt lgkmcnt(0)
	s_and_b32 s0, s0, 0xffff
	s_mul_i32 s6, s6, s0
	v_add_u32_e32 v4, s6, v0
	v_cmp_gt_i32_e32 vcc, s1, v4
	s_and_saveexec_b64 s[0:1], vcc
	s_cbranch_execz .LBB1_14
; %bb.1:
	s_load_dwordx4 s[8:11], s[4:5], 0x8
	s_load_dwordx2 s[16:17], s[4:5], 0x18
	s_load_dwordx4 s[0:3], s[4:5], 0x48
	v_ashrrev_i32_e32 v5, 31, v4
	v_lshlrev_b64 v[2:3], 2, v[4:5]
	s_waitcnt lgkmcnt(0)
	v_mov_b32_e32 v1, s9
	v_add_co_u32_e32 v0, vcc, s8, v2
	v_addc_co_u32_e32 v1, vcc, v1, v3, vcc
	global_load_dwordx2 v[6:7], v[0:1], off
	v_mov_b32_e32 v1, s1
	v_add_co_u32_e32 v0, vcc, s0, v2
	v_addc_co_u32_e32 v1, vcc, v1, v3, vcc
	global_load_dword v15, v[0:1], off
	s_load_dword s26, s[4:5], 0x20
	s_load_dwordx2 s[6:7], s[4:5], 0x58
	s_waitcnt vmcnt(1) lgkmcnt(0)
	v_subrev_u32_e32 v0, s26, v6
	v_subrev_u32_e32 v14, s26, v7
	v_cmp_lt_i32_e32 vcc, v6, v7
	s_and_saveexec_b64 s[8:9], vcc
	s_cbranch_execz .LBB1_11
; %bb.2:
	s_load_dwordx4 s[12:15], s[4:5], 0x28
	s_load_dwordx2 s[18:19], s[4:5], 0x38
	s_load_dword s27, s[4:5], 0x40
	v_mov_b32_e32 v9, s11
	v_mov_b32_e32 v11, s17
	s_waitcnt lgkmcnt(0)
	v_mov_b32_e32 v1, s13
	v_add_co_u32_e32 v6, vcc, s12, v2
	v_addc_co_u32_e32 v7, vcc, v1, v3, vcc
	global_load_dword v5, v[6:7], off
	v_ashrrev_i32_e32 v1, 31, v0
	v_lshlrev_b64 v[6:7], 2, v[0:1]
	v_add_co_u32_e32 v8, vcc, s10, v6
	v_addc_co_u32_e32 v9, vcc, v9, v7, vcc
	v_add_co_u32_e32 v10, vcc, s16, v6
	v_addc_co_u32_e32 v11, vcc, v11, v7, vcc
	s_mov_b64 s[20:21], 0
                                        ; implicit-def: $sgpr12_sgpr13
                                        ; implicit-def: $sgpr0_sgpr1
                                        ; implicit-def: $sgpr22_sgpr23
	s_waitcnt vmcnt(0)
	v_subrev_u32_e32 v12, s27, v5
	s_branch .LBB1_4
.LBB1_3:                                ;   in Loop: Header=BB1_4 Depth=1
	s_or_b64 exec, exec, s[24:25]
	s_and_b64 s[24:25], exec, s[0:1]
	s_or_b64 s[20:21], s[24:25], s[20:21]
	s_andn2_b64 s[12:13], s[12:13], exec
	s_and_b64 s[24:25], s[22:23], exec
	s_or_b64 s[12:13], s[12:13], s[24:25]
	s_andn2_b64 exec, exec, s[20:21]
	s_cbranch_execz .LBB1_6
.LBB1_4:                                ; =>This Inner Loop Header: Depth=1
	global_load_dword v5, v[8:9], off
	v_pk_mov_b32 v[6:7], v[0:1], v[0:1] op_sel:[0,1]
	s_or_b64 s[22:23], s[22:23], exec
	s_or_b64 s[0:1], s[0:1], exec
                                        ; implicit-def: $vgpr0_vgpr1
	s_waitcnt vmcnt(0)
	v_subrev_u32_e32 v5, s26, v5
	v_cmp_gt_i32_e32 vcc, v4, v5
	s_and_saveexec_b64 s[24:25], vcc
	s_cbranch_execz .LBB1_3
; %bb.5:                                ;   in Loop: Header=BB1_4 Depth=1
	v_ashrrev_i32_e32 v13, 31, v12
	v_lshlrev_b64 v[16:17], 2, v[12:13]
	v_mov_b32_e32 v1, s15
	v_add_co_u32_e32 v0, vcc, s14, v16
	v_addc_co_u32_e32 v1, vcc, v1, v17, vcc
	v_add_u32_e32 v13, s27, v5
	global_store_dword v[0:1], v13, off
	global_load_dword v13, v[10:11], off
	v_add_co_u32_e32 v0, vcc, 1, v6
	v_addc_co_u32_e32 v1, vcc, 0, v7, vcc
	v_add_co_u32_e32 v8, vcc, 4, v8
	v_mov_b32_e32 v18, s19
	v_addc_co_u32_e32 v9, vcc, 0, v9, vcc
	s_andn2_b64 s[28:29], s[0:1], exec
	v_add_co_u32_e64 v16, s[0:1], s18, v16
	v_cmp_ge_i32_e32 vcc, v0, v14
	v_addc_co_u32_e64 v17, s[0:1], v18, v17, s[0:1]
	s_and_b64 s[0:1], vcc, exec
	v_add_co_u32_e32 v10, vcc, 4, v10
	s_andn2_b64 s[22:23], s[22:23], exec
	v_add_u32_e32 v12, 1, v12
	v_addc_co_u32_e32 v11, vcc, 0, v11, vcc
	s_or_b64 s[0:1], s[28:29], s[0:1]
	s_waitcnt vmcnt(0)
	global_store_dword v[16:17], v13, off
	s_branch .LBB1_3
.LBB1_6:
	s_or_b64 exec, exec, s[20:21]
	s_and_saveexec_b64 s[0:1], s[12:13]
	s_xor_b64 s[0:1], exec, s[0:1]
	s_cbranch_execz .LBB1_10
; %bb.7:
	v_cmp_eq_u32_e32 vcc, v5, v4
	s_and_saveexec_b64 s[12:13], vcc
	s_cbranch_execz .LBB1_9
; %bb.8:
	v_lshlrev_b64 v[0:1], 2, v[6:7]
	v_mov_b32_e32 v4, s17
	v_add_co_u32_e32 v0, vcc, s16, v0
	v_addc_co_u32_e32 v1, vcc, v4, v1, vcc
	global_load_dword v4, v[0:1], off
	s_load_dwordx2 s[14:15], s[4:5], 0x68
	v_add_u32_e32 v6, 1, v6
	s_waitcnt lgkmcnt(0)
	v_mov_b32_e32 v1, s15
	v_add_co_u32_e32 v0, vcc, s14, v2
	v_addc_co_u32_e32 v1, vcc, v1, v3, vcc
	s_waitcnt vmcnt(0)
	global_store_dword v[0:1], v4, off
.LBB1_9:
	s_or_b64 exec, exec, s[12:13]
	v_mov_b32_e32 v0, v6
.LBB1_10:
	s_or_b64 exec, exec, s[0:1]
.LBB1_11:
	s_or_b64 exec, exec, s[8:9]
	v_cmp_lt_i32_e32 vcc, v0, v14
	s_and_b64 exec, exec, vcc
	s_cbranch_execz .LBB1_14
; %bb.12:
	s_load_dword s0, s[4:5], 0x60
	v_ashrrev_i32_e32 v1, 31, v0
	v_lshlrev_b64 v[4:5], 2, v[0:1]
	v_mov_b32_e32 v3, s11
	v_add_co_u32_e32 v2, vcc, s10, v4
	v_addc_co_u32_e32 v3, vcc, v3, v5, vcc
	v_mov_b32_e32 v1, s17
	v_add_co_u32_e32 v4, vcc, s16, v4
	s_waitcnt lgkmcnt(0)
	s_sub_i32 s8, s0, s26
	v_addc_co_u32_e32 v5, vcc, v1, v5, vcc
	s_waitcnt vmcnt(0)
	v_subrev_u32_e32 v6, s0, v15
	s_mov_b64 s[4:5], 0
	v_mov_b32_e32 v1, s3
	v_mov_b32_e32 v8, s7
.LBB1_13:                               ; =>This Inner Loop Header: Depth=1
	global_load_dword v9, v[2:3], off
	v_ashrrev_i32_e32 v7, 31, v6
	v_lshlrev_b64 v[10:11], 2, v[6:7]
	v_add_co_u32_e32 v12, vcc, s2, v10
	v_addc_co_u32_e32 v13, vcc, v1, v11, vcc
	v_add_co_u32_e32 v2, vcc, 4, v2
	v_add_u32_e32 v0, 1, v0
	v_addc_co_u32_e32 v3, vcc, 0, v3, vcc
	v_cmp_ge_i32_e32 vcc, v0, v14
	v_add_co_u32_e64 v10, s[0:1], s6, v10
	s_or_b64 s[4:5], vcc, s[4:5]
	v_add_u32_e32 v6, 1, v6
	v_addc_co_u32_e64 v11, s[0:1], v8, v11, s[0:1]
	s_waitcnt vmcnt(0)
	v_add_u32_e32 v7, s8, v9
	global_store_dword v[12:13], v7, off
	global_load_dword v7, v[4:5], off
	v_add_co_u32_e32 v4, vcc, 4, v4
	v_addc_co_u32_e32 v5, vcc, 0, v5, vcc
	s_waitcnt vmcnt(0)
	global_store_dword v[10:11], v7, off
	s_andn2_b64 exec, exec, s[4:5]
	s_cbranch_execnz .LBB1_13
.LBB1_14:
	s_endpgm
	.section	.rodata,"a",@progbits
	.p2align	6, 0x0
	.amdhsa_kernel _ZN9rocsparseL19csxsldu_fill_kernelILj1024EL20rocsparse_diag_type_1ELS1_1EiiiEEvT4_PKT3_PKS2_PKT2_21rocsparse_index_base_S5_PS2_PS8_SB_S5_SC_SD_SB_SD_
		.amdhsa_group_segment_fixed_size 0
		.amdhsa_private_segment_fixed_size 0
		.amdhsa_kernarg_size 368
		.amdhsa_user_sgpr_count 6
		.amdhsa_user_sgpr_private_segment_buffer 1
		.amdhsa_user_sgpr_dispatch_ptr 0
		.amdhsa_user_sgpr_queue_ptr 0
		.amdhsa_user_sgpr_kernarg_segment_ptr 1
		.amdhsa_user_sgpr_dispatch_id 0
		.amdhsa_user_sgpr_flat_scratch_init 0
		.amdhsa_user_sgpr_kernarg_preload_length 0
		.amdhsa_user_sgpr_kernarg_preload_offset 0
		.amdhsa_user_sgpr_private_segment_size 0
		.amdhsa_uses_dynamic_stack 0
		.amdhsa_system_sgpr_private_segment_wavefront_offset 0
		.amdhsa_system_sgpr_workgroup_id_x 1
		.amdhsa_system_sgpr_workgroup_id_y 0
		.amdhsa_system_sgpr_workgroup_id_z 0
		.amdhsa_system_sgpr_workgroup_info 0
		.amdhsa_system_vgpr_workitem_id 0
		.amdhsa_next_free_vgpr 19
		.amdhsa_next_free_sgpr 30
		.amdhsa_accum_offset 20
		.amdhsa_reserve_vcc 1
		.amdhsa_reserve_flat_scratch 0
		.amdhsa_float_round_mode_32 0
		.amdhsa_float_round_mode_16_64 0
		.amdhsa_float_denorm_mode_32 3
		.amdhsa_float_denorm_mode_16_64 3
		.amdhsa_dx10_clamp 1
		.amdhsa_ieee_mode 1
		.amdhsa_fp16_overflow 0
		.amdhsa_tg_split 0
		.amdhsa_exception_fp_ieee_invalid_op 0
		.amdhsa_exception_fp_denorm_src 0
		.amdhsa_exception_fp_ieee_div_zero 0
		.amdhsa_exception_fp_ieee_overflow 0
		.amdhsa_exception_fp_ieee_underflow 0
		.amdhsa_exception_fp_ieee_inexact 0
		.amdhsa_exception_int_div_zero 0
	.end_amdhsa_kernel
	.section	.text._ZN9rocsparseL19csxsldu_fill_kernelILj1024EL20rocsparse_diag_type_1ELS1_1EiiiEEvT4_PKT3_PKS2_PKT2_21rocsparse_index_base_S5_PS2_PS8_SB_S5_SC_SD_SB_SD_,"axG",@progbits,_ZN9rocsparseL19csxsldu_fill_kernelILj1024EL20rocsparse_diag_type_1ELS1_1EiiiEEvT4_PKT3_PKS2_PKT2_21rocsparse_index_base_S5_PS2_PS8_SB_S5_SC_SD_SB_SD_,comdat
.Lfunc_end1:
	.size	_ZN9rocsparseL19csxsldu_fill_kernelILj1024EL20rocsparse_diag_type_1ELS1_1EiiiEEvT4_PKT3_PKS2_PKT2_21rocsparse_index_base_S5_PS2_PS8_SB_S5_SC_SD_SB_SD_, .Lfunc_end1-_ZN9rocsparseL19csxsldu_fill_kernelILj1024EL20rocsparse_diag_type_1ELS1_1EiiiEEvT4_PKT3_PKS2_PKT2_21rocsparse_index_base_S5_PS2_PS8_SB_S5_SC_SD_SB_SD_
                                        ; -- End function
	.section	.AMDGPU.csdata,"",@progbits
; Kernel info:
; codeLenInByte = 792
; NumSgprs: 34
; NumVgprs: 19
; NumAgprs: 0
; TotalNumVgprs: 19
; ScratchSize: 0
; MemoryBound: 0
; FloatMode: 240
; IeeeMode: 1
; LDSByteSize: 0 bytes/workgroup (compile time only)
; SGPRBlocks: 4
; VGPRBlocks: 2
; NumSGPRsForWavesPerEU: 34
; NumVGPRsForWavesPerEU: 19
; AccumOffset: 20
; Occupancy: 8
; WaveLimiterHint : 0
; COMPUTE_PGM_RSRC2:SCRATCH_EN: 0
; COMPUTE_PGM_RSRC2:USER_SGPR: 6
; COMPUTE_PGM_RSRC2:TRAP_HANDLER: 0
; COMPUTE_PGM_RSRC2:TGID_X_EN: 1
; COMPUTE_PGM_RSRC2:TGID_Y_EN: 0
; COMPUTE_PGM_RSRC2:TGID_Z_EN: 0
; COMPUTE_PGM_RSRC2:TIDIG_COMP_CNT: 0
; COMPUTE_PGM_RSRC3_GFX90A:ACCUM_OFFSET: 4
; COMPUTE_PGM_RSRC3_GFX90A:TG_SPLIT: 0
	.section	.text._ZN9rocsparseL19csxsldu_fill_kernelILj1024EL20rocsparse_diag_type_0ELS1_1EiiiEEvT4_PKT3_PKS2_PKT2_21rocsparse_index_base_S5_PS2_PS8_SB_S5_SC_SD_SB_SD_,"axG",@progbits,_ZN9rocsparseL19csxsldu_fill_kernelILj1024EL20rocsparse_diag_type_0ELS1_1EiiiEEvT4_PKT3_PKS2_PKT2_21rocsparse_index_base_S5_PS2_PS8_SB_S5_SC_SD_SB_SD_,comdat
	.globl	_ZN9rocsparseL19csxsldu_fill_kernelILj1024EL20rocsparse_diag_type_0ELS1_1EiiiEEvT4_PKT3_PKS2_PKT2_21rocsparse_index_base_S5_PS2_PS8_SB_S5_SC_SD_SB_SD_ ; -- Begin function _ZN9rocsparseL19csxsldu_fill_kernelILj1024EL20rocsparse_diag_type_0ELS1_1EiiiEEvT4_PKT3_PKS2_PKT2_21rocsparse_index_base_S5_PS2_PS8_SB_S5_SC_SD_SB_SD_
	.p2align	8
	.type	_ZN9rocsparseL19csxsldu_fill_kernelILj1024EL20rocsparse_diag_type_0ELS1_1EiiiEEvT4_PKT3_PKS2_PKT2_21rocsparse_index_base_S5_PS2_PS8_SB_S5_SC_SD_SB_SD_,@function
_ZN9rocsparseL19csxsldu_fill_kernelILj1024EL20rocsparse_diag_type_0ELS1_1EiiiEEvT4_PKT3_PKS2_PKT2_21rocsparse_index_base_S5_PS2_PS8_SB_S5_SC_SD_SB_SD_: ; @_ZN9rocsparseL19csxsldu_fill_kernelILj1024EL20rocsparse_diag_type_0ELS1_1EiiiEEvT4_PKT3_PKS2_PKT2_21rocsparse_index_base_S5_PS2_PS8_SB_S5_SC_SD_SB_SD_
; %bb.0:
	s_load_dword s0, s[4:5], 0x7c
	s_load_dword s1, s[4:5], 0x0
	s_waitcnt lgkmcnt(0)
	s_and_b32 s0, s0, 0xffff
	s_mul_i32 s6, s6, s0
	v_add_u32_e32 v2, s6, v0
	v_cmp_gt_i32_e32 vcc, s1, v2
	s_and_saveexec_b64 s[0:1], vcc
	s_cbranch_execz .LBB2_10
; %bb.1:
	s_load_dwordx4 s[8:11], s[4:5], 0x8
	s_load_dwordx2 s[16:17], s[4:5], 0x18
	s_load_dwordx4 s[0:3], s[4:5], 0x48
	v_ashrrev_i32_e32 v3, 31, v2
	v_lshlrev_b64 v[4:5], 2, v[2:3]
	s_waitcnt lgkmcnt(0)
	v_mov_b32_e32 v1, s9
	v_add_co_u32_e32 v0, vcc, s8, v4
	v_addc_co_u32_e32 v1, vcc, v1, v5, vcc
	global_load_dwordx2 v[6:7], v[0:1], off
	v_mov_b32_e32 v1, s1
	v_add_co_u32_e32 v0, vcc, s0, v4
	v_addc_co_u32_e32 v1, vcc, v1, v5, vcc
	global_load_dword v11, v[0:1], off
	s_load_dword s22, s[4:5], 0x20
	s_load_dwordx2 s[6:7], s[4:5], 0x58
	s_waitcnt vmcnt(1) lgkmcnt(0)
	v_subrev_u32_e32 v0, s22, v6
	v_subrev_u32_e32 v10, s22, v7
	v_cmp_lt_i32_e32 vcc, v6, v7
	s_and_saveexec_b64 s[8:9], vcc
	s_cbranch_execz .LBB2_7
; %bb.2:
	s_load_dwordx4 s[12:15], s[4:5], 0x28
	s_load_dwordx2 s[18:19], s[4:5], 0x38
	s_load_dword s23, s[4:5], 0x40
	v_mov_b32_e32 v8, s17
                                        ; implicit-def: $sgpr0_sgpr1
	s_waitcnt lgkmcnt(0)
	v_mov_b32_e32 v1, s13
	v_add_co_u32_e32 v4, vcc, s12, v4
	v_addc_co_u32_e32 v5, vcc, v1, v5, vcc
	global_load_dword v3, v[4:5], off
	v_ashrrev_i32_e32 v1, 31, v0
	v_lshlrev_b64 v[6:7], 2, v[0:1]
	v_mov_b32_e32 v5, s11
	v_add_co_u32_e32 v4, vcc, s10, v6
	v_addc_co_u32_e32 v5, vcc, v5, v7, vcc
	v_add_co_u32_e32 v6, vcc, s16, v6
	v_addc_co_u32_e32 v7, vcc, v8, v7, vcc
	s_mov_b64 s[12:13], 0
	s_waitcnt vmcnt(0)
	v_subrev_u32_e32 v8, s23, v3
	s_branch .LBB2_4
.LBB2_3:                                ;   in Loop: Header=BB2_4 Depth=1
	s_or_b64 exec, exec, s[20:21]
	s_and_b64 s[20:21], exec, s[0:1]
	s_or_b64 s[12:13], s[20:21], s[12:13]
	s_andn2_b64 exec, exec, s[12:13]
	s_cbranch_execz .LBB2_6
.LBB2_4:                                ; =>This Inner Loop Header: Depth=1
	global_load_dword v1, v[4:5], off
	s_or_b64 s[0:1], s[0:1], exec
	s_waitcnt vmcnt(0)
	v_subrev_u32_e32 v1, s22, v1
	v_cmp_ge_i32_e32 vcc, v2, v1
	s_and_saveexec_b64 s[20:21], vcc
	s_cbranch_execz .LBB2_3
; %bb.5:                                ;   in Loop: Header=BB2_4 Depth=1
	v_ashrrev_i32_e32 v9, 31, v8
	v_lshlrev_b64 v[12:13], 2, v[8:9]
	v_mov_b32_e32 v3, s15
	v_add_co_u32_e32 v14, vcc, s14, v12
	v_addc_co_u32_e32 v15, vcc, v3, v13, vcc
	v_add_u32_e32 v1, s23, v1
	global_store_dword v[14:15], v1, off
	global_load_dword v1, v[6:7], off
	v_add_co_u32_e32 v4, vcc, 4, v4
	v_mov_b32_e32 v3, s19
	v_add_u32_e32 v0, 1, v0
	v_addc_co_u32_e32 v5, vcc, 0, v5, vcc
	s_andn2_b64 s[24:25], s[0:1], exec
	v_add_co_u32_e64 v12, s[0:1], s18, v12
	v_cmp_ge_i32_e32 vcc, v0, v10
	v_addc_co_u32_e64 v13, s[0:1], v3, v13, s[0:1]
	s_and_b64 s[0:1], vcc, exec
	v_add_co_u32_e32 v6, vcc, 4, v6
	v_add_u32_e32 v8, 1, v8
	v_addc_co_u32_e32 v7, vcc, 0, v7, vcc
	s_or_b64 s[0:1], s[24:25], s[0:1]
	s_waitcnt vmcnt(0)
	global_store_dword v[12:13], v1, off
	s_branch .LBB2_3
.LBB2_6:
	s_or_b64 exec, exec, s[12:13]
.LBB2_7:
	s_or_b64 exec, exec, s[8:9]
	v_cmp_lt_i32_e32 vcc, v0, v10
	s_and_b64 exec, exec, vcc
	s_cbranch_execz .LBB2_10
; %bb.8:
	s_load_dword s0, s[4:5], 0x60
	v_ashrrev_i32_e32 v1, 31, v0
	v_lshlrev_b64 v[4:5], 2, v[0:1]
	v_mov_b32_e32 v3, s11
	v_add_co_u32_e32 v2, vcc, s10, v4
	v_addc_co_u32_e32 v3, vcc, v3, v5, vcc
	v_mov_b32_e32 v1, s17
	v_add_co_u32_e32 v4, vcc, s16, v4
	s_waitcnt lgkmcnt(0)
	s_sub_i32 s8, s0, s22
	v_addc_co_u32_e32 v5, vcc, v1, v5, vcc
	s_waitcnt vmcnt(0)
	v_subrev_u32_e32 v6, s0, v11
	s_mov_b64 s[4:5], 0
	v_mov_b32_e32 v1, s3
	v_mov_b32_e32 v8, s7
.LBB2_9:                                ; =>This Inner Loop Header: Depth=1
	global_load_dword v9, v[2:3], off
	v_ashrrev_i32_e32 v7, 31, v6
	v_lshlrev_b64 v[12:13], 2, v[6:7]
	v_add_co_u32_e32 v14, vcc, s2, v12
	v_addc_co_u32_e32 v15, vcc, v1, v13, vcc
	v_add_co_u32_e32 v2, vcc, 4, v2
	v_add_u32_e32 v0, 1, v0
	v_addc_co_u32_e32 v3, vcc, 0, v3, vcc
	v_cmp_ge_i32_e32 vcc, v0, v10
	v_add_co_u32_e64 v12, s[0:1], s6, v12
	s_or_b64 s[4:5], vcc, s[4:5]
	v_add_u32_e32 v6, 1, v6
	v_addc_co_u32_e64 v13, s[0:1], v8, v13, s[0:1]
	s_waitcnt vmcnt(0)
	v_add_u32_e32 v7, s8, v9
	global_store_dword v[14:15], v7, off
	global_load_dword v7, v[4:5], off
	v_add_co_u32_e32 v4, vcc, 4, v4
	v_addc_co_u32_e32 v5, vcc, 0, v5, vcc
	s_waitcnt vmcnt(0)
	global_store_dword v[12:13], v7, off
	s_andn2_b64 exec, exec, s[4:5]
	s_cbranch_execnz .LBB2_9
.LBB2_10:
	s_endpgm
	.section	.rodata,"a",@progbits
	.p2align	6, 0x0
	.amdhsa_kernel _ZN9rocsparseL19csxsldu_fill_kernelILj1024EL20rocsparse_diag_type_0ELS1_1EiiiEEvT4_PKT3_PKS2_PKT2_21rocsparse_index_base_S5_PS2_PS8_SB_S5_SC_SD_SB_SD_
		.amdhsa_group_segment_fixed_size 0
		.amdhsa_private_segment_fixed_size 0
		.amdhsa_kernarg_size 368
		.amdhsa_user_sgpr_count 6
		.amdhsa_user_sgpr_private_segment_buffer 1
		.amdhsa_user_sgpr_dispatch_ptr 0
		.amdhsa_user_sgpr_queue_ptr 0
		.amdhsa_user_sgpr_kernarg_segment_ptr 1
		.amdhsa_user_sgpr_dispatch_id 0
		.amdhsa_user_sgpr_flat_scratch_init 0
		.amdhsa_user_sgpr_kernarg_preload_length 0
		.amdhsa_user_sgpr_kernarg_preload_offset 0
		.amdhsa_user_sgpr_private_segment_size 0
		.amdhsa_uses_dynamic_stack 0
		.amdhsa_system_sgpr_private_segment_wavefront_offset 0
		.amdhsa_system_sgpr_workgroup_id_x 1
		.amdhsa_system_sgpr_workgroup_id_y 0
		.amdhsa_system_sgpr_workgroup_id_z 0
		.amdhsa_system_sgpr_workgroup_info 0
		.amdhsa_system_vgpr_workitem_id 0
		.amdhsa_next_free_vgpr 16
		.amdhsa_next_free_sgpr 26
		.amdhsa_accum_offset 16
		.amdhsa_reserve_vcc 1
		.amdhsa_reserve_flat_scratch 0
		.amdhsa_float_round_mode_32 0
		.amdhsa_float_round_mode_16_64 0
		.amdhsa_float_denorm_mode_32 3
		.amdhsa_float_denorm_mode_16_64 3
		.amdhsa_dx10_clamp 1
		.amdhsa_ieee_mode 1
		.amdhsa_fp16_overflow 0
		.amdhsa_tg_split 0
		.amdhsa_exception_fp_ieee_invalid_op 0
		.amdhsa_exception_fp_denorm_src 0
		.amdhsa_exception_fp_ieee_div_zero 0
		.amdhsa_exception_fp_ieee_overflow 0
		.amdhsa_exception_fp_ieee_underflow 0
		.amdhsa_exception_fp_ieee_inexact 0
		.amdhsa_exception_int_div_zero 0
	.end_amdhsa_kernel
	.section	.text._ZN9rocsparseL19csxsldu_fill_kernelILj1024EL20rocsparse_diag_type_0ELS1_1EiiiEEvT4_PKT3_PKS2_PKT2_21rocsparse_index_base_S5_PS2_PS8_SB_S5_SC_SD_SB_SD_,"axG",@progbits,_ZN9rocsparseL19csxsldu_fill_kernelILj1024EL20rocsparse_diag_type_0ELS1_1EiiiEEvT4_PKT3_PKS2_PKT2_21rocsparse_index_base_S5_PS2_PS8_SB_S5_SC_SD_SB_SD_,comdat
.Lfunc_end2:
	.size	_ZN9rocsparseL19csxsldu_fill_kernelILj1024EL20rocsparse_diag_type_0ELS1_1EiiiEEvT4_PKT3_PKS2_PKT2_21rocsparse_index_base_S5_PS2_PS8_SB_S5_SC_SD_SB_SD_, .Lfunc_end2-_ZN9rocsparseL19csxsldu_fill_kernelILj1024EL20rocsparse_diag_type_0ELS1_1EiiiEEvT4_PKT3_PKS2_PKT2_21rocsparse_index_base_S5_PS2_PS8_SB_S5_SC_SD_SB_SD_
                                        ; -- End function
	.section	.AMDGPU.csdata,"",@progbits
; Kernel info:
; codeLenInByte = 656
; NumSgprs: 30
; NumVgprs: 16
; NumAgprs: 0
; TotalNumVgprs: 16
; ScratchSize: 0
; MemoryBound: 0
; FloatMode: 240
; IeeeMode: 1
; LDSByteSize: 0 bytes/workgroup (compile time only)
; SGPRBlocks: 3
; VGPRBlocks: 1
; NumSGPRsForWavesPerEU: 30
; NumVGPRsForWavesPerEU: 16
; AccumOffset: 16
; Occupancy: 8
; WaveLimiterHint : 0
; COMPUTE_PGM_RSRC2:SCRATCH_EN: 0
; COMPUTE_PGM_RSRC2:USER_SGPR: 6
; COMPUTE_PGM_RSRC2:TRAP_HANDLER: 0
; COMPUTE_PGM_RSRC2:TGID_X_EN: 1
; COMPUTE_PGM_RSRC2:TGID_Y_EN: 0
; COMPUTE_PGM_RSRC2:TGID_Z_EN: 0
; COMPUTE_PGM_RSRC2:TIDIG_COMP_CNT: 0
; COMPUTE_PGM_RSRC3_GFX90A:ACCUM_OFFSET: 3
; COMPUTE_PGM_RSRC3_GFX90A:TG_SPLIT: 0
	.section	.text._ZN9rocsparseL19csxsldu_fill_kernelILj1024EL20rocsparse_diag_type_1ELS1_0EfiiEEvT4_PKT3_PKS2_PKT2_21rocsparse_index_base_S5_PS2_PS8_SB_S5_SC_SD_SB_SD_,"axG",@progbits,_ZN9rocsparseL19csxsldu_fill_kernelILj1024EL20rocsparse_diag_type_1ELS1_0EfiiEEvT4_PKT3_PKS2_PKT2_21rocsparse_index_base_S5_PS2_PS8_SB_S5_SC_SD_SB_SD_,comdat
	.globl	_ZN9rocsparseL19csxsldu_fill_kernelILj1024EL20rocsparse_diag_type_1ELS1_0EfiiEEvT4_PKT3_PKS2_PKT2_21rocsparse_index_base_S5_PS2_PS8_SB_S5_SC_SD_SB_SD_ ; -- Begin function _ZN9rocsparseL19csxsldu_fill_kernelILj1024EL20rocsparse_diag_type_1ELS1_0EfiiEEvT4_PKT3_PKS2_PKT2_21rocsparse_index_base_S5_PS2_PS8_SB_S5_SC_SD_SB_SD_
	.p2align	8
	.type	_ZN9rocsparseL19csxsldu_fill_kernelILj1024EL20rocsparse_diag_type_1ELS1_0EfiiEEvT4_PKT3_PKS2_PKT2_21rocsparse_index_base_S5_PS2_PS8_SB_S5_SC_SD_SB_SD_,@function
_ZN9rocsparseL19csxsldu_fill_kernelILj1024EL20rocsparse_diag_type_1ELS1_0EfiiEEvT4_PKT3_PKS2_PKT2_21rocsparse_index_base_S5_PS2_PS8_SB_S5_SC_SD_SB_SD_: ; @_ZN9rocsparseL19csxsldu_fill_kernelILj1024EL20rocsparse_diag_type_1ELS1_0EfiiEEvT4_PKT3_PKS2_PKT2_21rocsparse_index_base_S5_PS2_PS8_SB_S5_SC_SD_SB_SD_
; %bb.0:
	s_load_dword s0, s[4:5], 0x7c
	s_load_dword s1, s[4:5], 0x0
	s_waitcnt lgkmcnt(0)
	s_and_b32 s0, s0, 0xffff
	s_mul_i32 s6, s6, s0
	v_add_u32_e32 v2, s6, v0
	v_cmp_gt_i32_e32 vcc, s1, v2
	s_and_saveexec_b64 s[0:1], vcc
	s_cbranch_execz .LBB3_10
; %bb.1:
	s_load_dwordx4 s[8:11], s[4:5], 0x8
	s_load_dwordx2 s[16:17], s[4:5], 0x18
	s_load_dwordx4 s[0:3], s[4:5], 0x48
	v_ashrrev_i32_e32 v3, 31, v2
	v_lshlrev_b64 v[4:5], 2, v[2:3]
	s_waitcnt lgkmcnt(0)
	v_mov_b32_e32 v1, s9
	v_add_co_u32_e32 v0, vcc, s8, v4
	v_addc_co_u32_e32 v1, vcc, v1, v5, vcc
	global_load_dwordx2 v[6:7], v[0:1], off
	v_mov_b32_e32 v1, s1
	v_add_co_u32_e32 v0, vcc, s0, v4
	v_addc_co_u32_e32 v1, vcc, v1, v5, vcc
	global_load_dword v11, v[0:1], off
	s_load_dword s22, s[4:5], 0x20
	s_load_dwordx2 s[6:7], s[4:5], 0x58
	s_waitcnt vmcnt(1) lgkmcnt(0)
	v_subrev_u32_e32 v0, s22, v6
	v_subrev_u32_e32 v10, s22, v7
	v_cmp_lt_i32_e32 vcc, v6, v7
	s_and_saveexec_b64 s[8:9], vcc
	s_cbranch_execz .LBB3_7
; %bb.2:
	s_load_dwordx4 s[12:15], s[4:5], 0x28
	s_load_dwordx2 s[18:19], s[4:5], 0x38
	s_load_dword s23, s[4:5], 0x40
	v_mov_b32_e32 v8, s17
                                        ; implicit-def: $sgpr0_sgpr1
	s_waitcnt lgkmcnt(0)
	v_mov_b32_e32 v1, s13
	v_add_co_u32_e32 v4, vcc, s12, v4
	v_addc_co_u32_e32 v5, vcc, v1, v5, vcc
	global_load_dword v3, v[4:5], off
	v_ashrrev_i32_e32 v1, 31, v0
	v_lshlrev_b64 v[6:7], 2, v[0:1]
	v_mov_b32_e32 v5, s11
	v_add_co_u32_e32 v4, vcc, s10, v6
	v_addc_co_u32_e32 v5, vcc, v5, v7, vcc
	v_add_co_u32_e32 v6, vcc, s16, v6
	v_addc_co_u32_e32 v7, vcc, v8, v7, vcc
	s_mov_b64 s[12:13], 0
	s_waitcnt vmcnt(0)
	v_subrev_u32_e32 v8, s23, v3
	s_branch .LBB3_4
.LBB3_3:                                ;   in Loop: Header=BB3_4 Depth=1
	s_or_b64 exec, exec, s[20:21]
	s_and_b64 s[20:21], exec, s[0:1]
	s_or_b64 s[12:13], s[20:21], s[12:13]
	s_andn2_b64 exec, exec, s[12:13]
	s_cbranch_execz .LBB3_6
.LBB3_4:                                ; =>This Inner Loop Header: Depth=1
	global_load_dword v1, v[4:5], off
	s_or_b64 s[0:1], s[0:1], exec
	s_waitcnt vmcnt(0)
	v_subrev_u32_e32 v1, s22, v1
	v_cmp_gt_i32_e32 vcc, v2, v1
	s_and_saveexec_b64 s[20:21], vcc
	s_cbranch_execz .LBB3_3
; %bb.5:                                ;   in Loop: Header=BB3_4 Depth=1
	global_load_dword v3, v[6:7], off
	v_ashrrev_i32_e32 v9, 31, v8
	v_add_co_u32_e32 v4, vcc, 4, v4
	v_lshlrev_b64 v[12:13], 2, v[8:9]
	v_mov_b32_e32 v15, s19
	v_addc_co_u32_e32 v5, vcc, 0, v5, vcc
	s_andn2_b64 s[24:25], s[0:1], exec
	v_add_co_u32_e64 v14, s[0:1], s18, v12
	v_add_co_u32_e32 v6, vcc, 4, v6
	v_addc_co_u32_e64 v15, s[0:1], v15, v13, s[0:1]
	v_mov_b32_e32 v16, s15
	v_add_u32_e32 v0, 1, v0
	v_addc_co_u32_e32 v7, vcc, 0, v7, vcc
	v_add_co_u32_e64 v12, s[0:1], s14, v12
	v_cmp_ge_i32_e32 vcc, v0, v10
	v_addc_co_u32_e64 v13, s[0:1], v16, v13, s[0:1]
	s_and_b64 s[0:1], vcc, exec
	v_add_u32_e32 v1, s23, v1
	v_add_u32_e32 v8, 1, v8
	s_or_b64 s[0:1], s[24:25], s[0:1]
	global_store_dword v[12:13], v1, off
	s_waitcnt vmcnt(1)
	global_store_dword v[14:15], v3, off
	s_branch .LBB3_3
.LBB3_6:
	s_or_b64 exec, exec, s[12:13]
.LBB3_7:
	s_or_b64 exec, exec, s[8:9]
	v_cmp_lt_i32_e32 vcc, v0, v10
	s_and_b64 exec, exec, vcc
	s_cbranch_execz .LBB3_10
; %bb.8:
	s_load_dword s0, s[4:5], 0x60
	v_ashrrev_i32_e32 v1, 31, v0
	v_lshlrev_b64 v[4:5], 2, v[0:1]
	v_mov_b32_e32 v3, s11
	v_add_co_u32_e32 v2, vcc, s10, v4
	v_addc_co_u32_e32 v3, vcc, v3, v5, vcc
	v_mov_b32_e32 v1, s17
	v_add_co_u32_e32 v4, vcc, s16, v4
	s_waitcnt lgkmcnt(0)
	s_sub_i32 s8, s0, s22
	v_addc_co_u32_e32 v5, vcc, v1, v5, vcc
	s_waitcnt vmcnt(0)
	v_subrev_u32_e32 v6, s0, v11
	s_mov_b64 s[4:5], 0
	v_mov_b32_e32 v1, s3
	v_mov_b32_e32 v8, s7
.LBB3_9:                                ; =>This Inner Loop Header: Depth=1
	global_load_dword v9, v[2:3], off
	global_load_dword v11, v[4:5], off
	v_ashrrev_i32_e32 v7, 31, v6
	v_add_co_u32_e32 v2, vcc, 4, v2
	v_addc_co_u32_e32 v3, vcc, 0, v3, vcc
	v_lshlrev_b64 v[12:13], 2, v[6:7]
	v_add_co_u32_e32 v4, vcc, 4, v4
	v_add_co_u32_e64 v14, s[0:1], s2, v12
	v_add_u32_e32 v0, 1, v0
	v_addc_co_u32_e32 v5, vcc, 0, v5, vcc
	v_addc_co_u32_e64 v15, s[0:1], v1, v13, s[0:1]
	v_cmp_ge_i32_e32 vcc, v0, v10
	v_add_co_u32_e64 v12, s[0:1], s6, v12
	v_add_u32_e32 v6, 1, v6
	v_addc_co_u32_e64 v13, s[0:1], v8, v13, s[0:1]
	s_or_b64 s[4:5], vcc, s[4:5]
	s_waitcnt vmcnt(1)
	v_add_u32_e32 v7, s8, v9
	s_waitcnt vmcnt(0)
	global_store_dword v[12:13], v11, off
	global_store_dword v[14:15], v7, off
	s_andn2_b64 exec, exec, s[4:5]
	s_cbranch_execnz .LBB3_9
.LBB3_10:
	s_endpgm
	.section	.rodata,"a",@progbits
	.p2align	6, 0x0
	.amdhsa_kernel _ZN9rocsparseL19csxsldu_fill_kernelILj1024EL20rocsparse_diag_type_1ELS1_0EfiiEEvT4_PKT3_PKS2_PKT2_21rocsparse_index_base_S5_PS2_PS8_SB_S5_SC_SD_SB_SD_
		.amdhsa_group_segment_fixed_size 0
		.amdhsa_private_segment_fixed_size 0
		.amdhsa_kernarg_size 368
		.amdhsa_user_sgpr_count 6
		.amdhsa_user_sgpr_private_segment_buffer 1
		.amdhsa_user_sgpr_dispatch_ptr 0
		.amdhsa_user_sgpr_queue_ptr 0
		.amdhsa_user_sgpr_kernarg_segment_ptr 1
		.amdhsa_user_sgpr_dispatch_id 0
		.amdhsa_user_sgpr_flat_scratch_init 0
		.amdhsa_user_sgpr_kernarg_preload_length 0
		.amdhsa_user_sgpr_kernarg_preload_offset 0
		.amdhsa_user_sgpr_private_segment_size 0
		.amdhsa_uses_dynamic_stack 0
		.amdhsa_system_sgpr_private_segment_wavefront_offset 0
		.amdhsa_system_sgpr_workgroup_id_x 1
		.amdhsa_system_sgpr_workgroup_id_y 0
		.amdhsa_system_sgpr_workgroup_id_z 0
		.amdhsa_system_sgpr_workgroup_info 0
		.amdhsa_system_vgpr_workitem_id 0
		.amdhsa_next_free_vgpr 17
		.amdhsa_next_free_sgpr 26
		.amdhsa_accum_offset 20
		.amdhsa_reserve_vcc 1
		.amdhsa_reserve_flat_scratch 0
		.amdhsa_float_round_mode_32 0
		.amdhsa_float_round_mode_16_64 0
		.amdhsa_float_denorm_mode_32 3
		.amdhsa_float_denorm_mode_16_64 3
		.amdhsa_dx10_clamp 1
		.amdhsa_ieee_mode 1
		.amdhsa_fp16_overflow 0
		.amdhsa_tg_split 0
		.amdhsa_exception_fp_ieee_invalid_op 0
		.amdhsa_exception_fp_denorm_src 0
		.amdhsa_exception_fp_ieee_div_zero 0
		.amdhsa_exception_fp_ieee_overflow 0
		.amdhsa_exception_fp_ieee_underflow 0
		.amdhsa_exception_fp_ieee_inexact 0
		.amdhsa_exception_int_div_zero 0
	.end_amdhsa_kernel
	.section	.text._ZN9rocsparseL19csxsldu_fill_kernelILj1024EL20rocsparse_diag_type_1ELS1_0EfiiEEvT4_PKT3_PKS2_PKT2_21rocsparse_index_base_S5_PS2_PS8_SB_S5_SC_SD_SB_SD_,"axG",@progbits,_ZN9rocsparseL19csxsldu_fill_kernelILj1024EL20rocsparse_diag_type_1ELS1_0EfiiEEvT4_PKT3_PKS2_PKT2_21rocsparse_index_base_S5_PS2_PS8_SB_S5_SC_SD_SB_SD_,comdat
.Lfunc_end3:
	.size	_ZN9rocsparseL19csxsldu_fill_kernelILj1024EL20rocsparse_diag_type_1ELS1_0EfiiEEvT4_PKT3_PKS2_PKT2_21rocsparse_index_base_S5_PS2_PS8_SB_S5_SC_SD_SB_SD_, .Lfunc_end3-_ZN9rocsparseL19csxsldu_fill_kernelILj1024EL20rocsparse_diag_type_1ELS1_0EfiiEEvT4_PKT3_PKS2_PKT2_21rocsparse_index_base_S5_PS2_PS8_SB_S5_SC_SD_SB_SD_
                                        ; -- End function
	.section	.AMDGPU.csdata,"",@progbits
; Kernel info:
; codeLenInByte = 672
; NumSgprs: 30
; NumVgprs: 17
; NumAgprs: 0
; TotalNumVgprs: 17
; ScratchSize: 0
; MemoryBound: 0
; FloatMode: 240
; IeeeMode: 1
; LDSByteSize: 0 bytes/workgroup (compile time only)
; SGPRBlocks: 3
; VGPRBlocks: 2
; NumSGPRsForWavesPerEU: 30
; NumVGPRsForWavesPerEU: 17
; AccumOffset: 20
; Occupancy: 8
; WaveLimiterHint : 0
; COMPUTE_PGM_RSRC2:SCRATCH_EN: 0
; COMPUTE_PGM_RSRC2:USER_SGPR: 6
; COMPUTE_PGM_RSRC2:TRAP_HANDLER: 0
; COMPUTE_PGM_RSRC2:TGID_X_EN: 1
; COMPUTE_PGM_RSRC2:TGID_Y_EN: 0
; COMPUTE_PGM_RSRC2:TGID_Z_EN: 0
; COMPUTE_PGM_RSRC2:TIDIG_COMP_CNT: 0
; COMPUTE_PGM_RSRC3_GFX90A:ACCUM_OFFSET: 4
; COMPUTE_PGM_RSRC3_GFX90A:TG_SPLIT: 0
	.section	.text._ZN9rocsparseL19csxsldu_fill_kernelILj1024EL20rocsparse_diag_type_1ELS1_1EfiiEEvT4_PKT3_PKS2_PKT2_21rocsparse_index_base_S5_PS2_PS8_SB_S5_SC_SD_SB_SD_,"axG",@progbits,_ZN9rocsparseL19csxsldu_fill_kernelILj1024EL20rocsparse_diag_type_1ELS1_1EfiiEEvT4_PKT3_PKS2_PKT2_21rocsparse_index_base_S5_PS2_PS8_SB_S5_SC_SD_SB_SD_,comdat
	.globl	_ZN9rocsparseL19csxsldu_fill_kernelILj1024EL20rocsparse_diag_type_1ELS1_1EfiiEEvT4_PKT3_PKS2_PKT2_21rocsparse_index_base_S5_PS2_PS8_SB_S5_SC_SD_SB_SD_ ; -- Begin function _ZN9rocsparseL19csxsldu_fill_kernelILj1024EL20rocsparse_diag_type_1ELS1_1EfiiEEvT4_PKT3_PKS2_PKT2_21rocsparse_index_base_S5_PS2_PS8_SB_S5_SC_SD_SB_SD_
	.p2align	8
	.type	_ZN9rocsparseL19csxsldu_fill_kernelILj1024EL20rocsparse_diag_type_1ELS1_1EfiiEEvT4_PKT3_PKS2_PKT2_21rocsparse_index_base_S5_PS2_PS8_SB_S5_SC_SD_SB_SD_,@function
_ZN9rocsparseL19csxsldu_fill_kernelILj1024EL20rocsparse_diag_type_1ELS1_1EfiiEEvT4_PKT3_PKS2_PKT2_21rocsparse_index_base_S5_PS2_PS8_SB_S5_SC_SD_SB_SD_: ; @_ZN9rocsparseL19csxsldu_fill_kernelILj1024EL20rocsparse_diag_type_1ELS1_1EfiiEEvT4_PKT3_PKS2_PKT2_21rocsparse_index_base_S5_PS2_PS8_SB_S5_SC_SD_SB_SD_
; %bb.0:
	s_load_dword s0, s[4:5], 0x7c
	s_load_dword s1, s[4:5], 0x0
	s_waitcnt lgkmcnt(0)
	s_and_b32 s0, s0, 0xffff
	s_mul_i32 s6, s6, s0
	v_add_u32_e32 v4, s6, v0
	v_cmp_gt_i32_e32 vcc, s1, v4
	s_and_saveexec_b64 s[0:1], vcc
	s_cbranch_execz .LBB4_14
; %bb.1:
	s_load_dwordx4 s[8:11], s[4:5], 0x8
	s_load_dwordx2 s[16:17], s[4:5], 0x18
	s_load_dwordx4 s[0:3], s[4:5], 0x48
	v_ashrrev_i32_e32 v5, 31, v4
	v_lshlrev_b64 v[2:3], 2, v[4:5]
	s_waitcnt lgkmcnt(0)
	v_mov_b32_e32 v1, s9
	v_add_co_u32_e32 v0, vcc, s8, v2
	v_addc_co_u32_e32 v1, vcc, v1, v3, vcc
	global_load_dwordx2 v[6:7], v[0:1], off
	v_mov_b32_e32 v1, s1
	v_add_co_u32_e32 v0, vcc, s0, v2
	v_addc_co_u32_e32 v1, vcc, v1, v3, vcc
	global_load_dword v15, v[0:1], off
	s_load_dword s26, s[4:5], 0x20
	s_load_dwordx2 s[6:7], s[4:5], 0x58
	s_waitcnt vmcnt(1) lgkmcnt(0)
	v_subrev_u32_e32 v0, s26, v6
	v_subrev_u32_e32 v14, s26, v7
	v_cmp_lt_i32_e32 vcc, v6, v7
	s_and_saveexec_b64 s[8:9], vcc
	s_cbranch_execz .LBB4_11
; %bb.2:
	s_load_dwordx4 s[12:15], s[4:5], 0x28
	s_load_dwordx2 s[18:19], s[4:5], 0x38
	s_load_dword s27, s[4:5], 0x40
	v_mov_b32_e32 v9, s11
	v_mov_b32_e32 v11, s17
	s_waitcnt lgkmcnt(0)
	v_mov_b32_e32 v1, s13
	v_add_co_u32_e32 v6, vcc, s12, v2
	v_addc_co_u32_e32 v7, vcc, v1, v3, vcc
	global_load_dword v5, v[6:7], off
	v_ashrrev_i32_e32 v1, 31, v0
	v_lshlrev_b64 v[6:7], 2, v[0:1]
	v_add_co_u32_e32 v8, vcc, s10, v6
	v_addc_co_u32_e32 v9, vcc, v9, v7, vcc
	v_add_co_u32_e32 v10, vcc, s16, v6
	v_addc_co_u32_e32 v11, vcc, v11, v7, vcc
	s_mov_b64 s[20:21], 0
                                        ; implicit-def: $sgpr12_sgpr13
                                        ; implicit-def: $sgpr0_sgpr1
                                        ; implicit-def: $sgpr22_sgpr23
	s_waitcnt vmcnt(0)
	v_subrev_u32_e32 v12, s27, v5
	s_branch .LBB4_4
.LBB4_3:                                ;   in Loop: Header=BB4_4 Depth=1
	s_or_b64 exec, exec, s[24:25]
	s_and_b64 s[24:25], exec, s[0:1]
	s_or_b64 s[20:21], s[24:25], s[20:21]
	s_andn2_b64 s[12:13], s[12:13], exec
	s_and_b64 s[24:25], s[22:23], exec
	s_or_b64 s[12:13], s[12:13], s[24:25]
	s_andn2_b64 exec, exec, s[20:21]
	s_cbranch_execz .LBB4_6
.LBB4_4:                                ; =>This Inner Loop Header: Depth=1
	global_load_dword v5, v[8:9], off
	v_pk_mov_b32 v[6:7], v[0:1], v[0:1] op_sel:[0,1]
	s_or_b64 s[22:23], s[22:23], exec
	s_or_b64 s[0:1], s[0:1], exec
                                        ; implicit-def: $vgpr0_vgpr1
	s_waitcnt vmcnt(0)
	v_subrev_u32_e32 v5, s26, v5
	v_cmp_gt_i32_e32 vcc, v4, v5
	s_and_saveexec_b64 s[24:25], vcc
	s_cbranch_execz .LBB4_3
; %bb.5:                                ;   in Loop: Header=BB4_4 Depth=1
	global_load_dword v20, v[10:11], off
	v_add_co_u32_e32 v0, vcc, 1, v6
	v_ashrrev_i32_e32 v13, 31, v12
	v_addc_co_u32_e32 v1, vcc, 0, v7, vcc
	v_add_co_u32_e32 v8, vcc, 4, v8
	v_lshlrev_b64 v[16:17], 2, v[12:13]
	v_mov_b32_e32 v19, s19
	v_addc_co_u32_e32 v9, vcc, 0, v9, vcc
	s_andn2_b64 s[28:29], s[0:1], exec
	v_add_co_u32_e64 v18, s[0:1], s18, v16
	v_add_co_u32_e32 v10, vcc, 4, v10
	v_addc_co_u32_e64 v19, s[0:1], v19, v17, s[0:1]
	v_mov_b32_e32 v21, s15
	v_addc_co_u32_e32 v11, vcc, 0, v11, vcc
	v_add_co_u32_e64 v16, s[0:1], s14, v16
	v_cmp_ge_i32_e32 vcc, v0, v14
	v_addc_co_u32_e64 v17, s[0:1], v21, v17, s[0:1]
	s_and_b64 s[0:1], vcc, exec
	v_add_u32_e32 v22, s27, v5
	s_andn2_b64 s[22:23], s[22:23], exec
	v_add_u32_e32 v12, 1, v12
	s_or_b64 s[0:1], s[28:29], s[0:1]
	global_store_dword v[16:17], v22, off
	s_waitcnt vmcnt(1)
	global_store_dword v[18:19], v20, off
	s_branch .LBB4_3
.LBB4_6:
	s_or_b64 exec, exec, s[20:21]
	s_and_saveexec_b64 s[0:1], s[12:13]
	s_xor_b64 s[0:1], exec, s[0:1]
	s_cbranch_execz .LBB4_10
; %bb.7:
	v_cmp_eq_u32_e32 vcc, v5, v4
	s_and_saveexec_b64 s[12:13], vcc
	s_cbranch_execz .LBB4_9
; %bb.8:
	v_lshlrev_b64 v[0:1], 2, v[6:7]
	v_mov_b32_e32 v4, s17
	v_add_co_u32_e32 v0, vcc, s16, v0
	v_addc_co_u32_e32 v1, vcc, v4, v1, vcc
	global_load_dword v4, v[0:1], off
	s_load_dwordx2 s[14:15], s[4:5], 0x68
	v_add_u32_e32 v6, 1, v6
	s_waitcnt lgkmcnt(0)
	v_mov_b32_e32 v1, s15
	v_add_co_u32_e32 v0, vcc, s14, v2
	v_addc_co_u32_e32 v1, vcc, v1, v3, vcc
	s_waitcnt vmcnt(0)
	global_store_dword v[0:1], v4, off
.LBB4_9:
	s_or_b64 exec, exec, s[12:13]
	v_mov_b32_e32 v0, v6
.LBB4_10:
	s_or_b64 exec, exec, s[0:1]
.LBB4_11:
	s_or_b64 exec, exec, s[8:9]
	v_cmp_lt_i32_e32 vcc, v0, v14
	s_and_b64 exec, exec, vcc
	s_cbranch_execz .LBB4_14
; %bb.12:
	s_load_dword s0, s[4:5], 0x60
	v_ashrrev_i32_e32 v1, 31, v0
	v_lshlrev_b64 v[4:5], 2, v[0:1]
	v_mov_b32_e32 v3, s11
	v_add_co_u32_e32 v2, vcc, s10, v4
	v_addc_co_u32_e32 v3, vcc, v3, v5, vcc
	v_mov_b32_e32 v1, s17
	v_add_co_u32_e32 v4, vcc, s16, v4
	s_waitcnt lgkmcnt(0)
	s_sub_i32 s8, s0, s26
	v_addc_co_u32_e32 v5, vcc, v1, v5, vcc
	s_waitcnt vmcnt(0)
	v_subrev_u32_e32 v6, s0, v15
	s_mov_b64 s[4:5], 0
	v_mov_b32_e32 v1, s3
	v_mov_b32_e32 v8, s7
.LBB4_13:                               ; =>This Inner Loop Header: Depth=1
	global_load_dword v9, v[2:3], off
	global_load_dword v15, v[4:5], off
	v_ashrrev_i32_e32 v7, 31, v6
	v_add_co_u32_e32 v2, vcc, 4, v2
	v_addc_co_u32_e32 v3, vcc, 0, v3, vcc
	v_lshlrev_b64 v[10:11], 2, v[6:7]
	v_add_co_u32_e32 v4, vcc, 4, v4
	v_add_co_u32_e64 v12, s[0:1], s2, v10
	v_add_u32_e32 v0, 1, v0
	v_addc_co_u32_e32 v5, vcc, 0, v5, vcc
	v_addc_co_u32_e64 v13, s[0:1], v1, v11, s[0:1]
	v_cmp_ge_i32_e32 vcc, v0, v14
	v_add_co_u32_e64 v10, s[0:1], s6, v10
	v_add_u32_e32 v6, 1, v6
	v_addc_co_u32_e64 v11, s[0:1], v8, v11, s[0:1]
	s_or_b64 s[4:5], vcc, s[4:5]
	s_waitcnt vmcnt(1)
	v_add_u32_e32 v7, s8, v9
	s_waitcnt vmcnt(0)
	global_store_dword v[10:11], v15, off
	global_store_dword v[12:13], v7, off
	s_andn2_b64 exec, exec, s[4:5]
	s_cbranch_execnz .LBB4_13
.LBB4_14:
	s_endpgm
	.section	.rodata,"a",@progbits
	.p2align	6, 0x0
	.amdhsa_kernel _ZN9rocsparseL19csxsldu_fill_kernelILj1024EL20rocsparse_diag_type_1ELS1_1EfiiEEvT4_PKT3_PKS2_PKT2_21rocsparse_index_base_S5_PS2_PS8_SB_S5_SC_SD_SB_SD_
		.amdhsa_group_segment_fixed_size 0
		.amdhsa_private_segment_fixed_size 0
		.amdhsa_kernarg_size 368
		.amdhsa_user_sgpr_count 6
		.amdhsa_user_sgpr_private_segment_buffer 1
		.amdhsa_user_sgpr_dispatch_ptr 0
		.amdhsa_user_sgpr_queue_ptr 0
		.amdhsa_user_sgpr_kernarg_segment_ptr 1
		.amdhsa_user_sgpr_dispatch_id 0
		.amdhsa_user_sgpr_flat_scratch_init 0
		.amdhsa_user_sgpr_kernarg_preload_length 0
		.amdhsa_user_sgpr_kernarg_preload_offset 0
		.amdhsa_user_sgpr_private_segment_size 0
		.amdhsa_uses_dynamic_stack 0
		.amdhsa_system_sgpr_private_segment_wavefront_offset 0
		.amdhsa_system_sgpr_workgroup_id_x 1
		.amdhsa_system_sgpr_workgroup_id_y 0
		.amdhsa_system_sgpr_workgroup_id_z 0
		.amdhsa_system_sgpr_workgroup_info 0
		.amdhsa_system_vgpr_workitem_id 0
		.amdhsa_next_free_vgpr 23
		.amdhsa_next_free_sgpr 30
		.amdhsa_accum_offset 24
		.amdhsa_reserve_vcc 1
		.amdhsa_reserve_flat_scratch 0
		.amdhsa_float_round_mode_32 0
		.amdhsa_float_round_mode_16_64 0
		.amdhsa_float_denorm_mode_32 3
		.amdhsa_float_denorm_mode_16_64 3
		.amdhsa_dx10_clamp 1
		.amdhsa_ieee_mode 1
		.amdhsa_fp16_overflow 0
		.amdhsa_tg_split 0
		.amdhsa_exception_fp_ieee_invalid_op 0
		.amdhsa_exception_fp_denorm_src 0
		.amdhsa_exception_fp_ieee_div_zero 0
		.amdhsa_exception_fp_ieee_overflow 0
		.amdhsa_exception_fp_ieee_underflow 0
		.amdhsa_exception_fp_ieee_inexact 0
		.amdhsa_exception_int_div_zero 0
	.end_amdhsa_kernel
	.section	.text._ZN9rocsparseL19csxsldu_fill_kernelILj1024EL20rocsparse_diag_type_1ELS1_1EfiiEEvT4_PKT3_PKS2_PKT2_21rocsparse_index_base_S5_PS2_PS8_SB_S5_SC_SD_SB_SD_,"axG",@progbits,_ZN9rocsparseL19csxsldu_fill_kernelILj1024EL20rocsparse_diag_type_1ELS1_1EfiiEEvT4_PKT3_PKS2_PKT2_21rocsparse_index_base_S5_PS2_PS8_SB_S5_SC_SD_SB_SD_,comdat
.Lfunc_end4:
	.size	_ZN9rocsparseL19csxsldu_fill_kernelILj1024EL20rocsparse_diag_type_1ELS1_1EfiiEEvT4_PKT3_PKS2_PKT2_21rocsparse_index_base_S5_PS2_PS8_SB_S5_SC_SD_SB_SD_, .Lfunc_end4-_ZN9rocsparseL19csxsldu_fill_kernelILj1024EL20rocsparse_diag_type_1ELS1_1EfiiEEvT4_PKT3_PKS2_PKT2_21rocsparse_index_base_S5_PS2_PS8_SB_S5_SC_SD_SB_SD_
                                        ; -- End function
	.section	.AMDGPU.csdata,"",@progbits
; Kernel info:
; codeLenInByte = 808
; NumSgprs: 34
; NumVgprs: 23
; NumAgprs: 0
; TotalNumVgprs: 23
; ScratchSize: 0
; MemoryBound: 0
; FloatMode: 240
; IeeeMode: 1
; LDSByteSize: 0 bytes/workgroup (compile time only)
; SGPRBlocks: 4
; VGPRBlocks: 2
; NumSGPRsForWavesPerEU: 34
; NumVGPRsForWavesPerEU: 23
; AccumOffset: 24
; Occupancy: 8
; WaveLimiterHint : 0
; COMPUTE_PGM_RSRC2:SCRATCH_EN: 0
; COMPUTE_PGM_RSRC2:USER_SGPR: 6
; COMPUTE_PGM_RSRC2:TRAP_HANDLER: 0
; COMPUTE_PGM_RSRC2:TGID_X_EN: 1
; COMPUTE_PGM_RSRC2:TGID_Y_EN: 0
; COMPUTE_PGM_RSRC2:TGID_Z_EN: 0
; COMPUTE_PGM_RSRC2:TIDIG_COMP_CNT: 0
; COMPUTE_PGM_RSRC3_GFX90A:ACCUM_OFFSET: 5
; COMPUTE_PGM_RSRC3_GFX90A:TG_SPLIT: 0
	.section	.text._ZN9rocsparseL19csxsldu_fill_kernelILj1024EL20rocsparse_diag_type_0ELS1_1EfiiEEvT4_PKT3_PKS2_PKT2_21rocsparse_index_base_S5_PS2_PS8_SB_S5_SC_SD_SB_SD_,"axG",@progbits,_ZN9rocsparseL19csxsldu_fill_kernelILj1024EL20rocsparse_diag_type_0ELS1_1EfiiEEvT4_PKT3_PKS2_PKT2_21rocsparse_index_base_S5_PS2_PS8_SB_S5_SC_SD_SB_SD_,comdat
	.globl	_ZN9rocsparseL19csxsldu_fill_kernelILj1024EL20rocsparse_diag_type_0ELS1_1EfiiEEvT4_PKT3_PKS2_PKT2_21rocsparse_index_base_S5_PS2_PS8_SB_S5_SC_SD_SB_SD_ ; -- Begin function _ZN9rocsparseL19csxsldu_fill_kernelILj1024EL20rocsparse_diag_type_0ELS1_1EfiiEEvT4_PKT3_PKS2_PKT2_21rocsparse_index_base_S5_PS2_PS8_SB_S5_SC_SD_SB_SD_
	.p2align	8
	.type	_ZN9rocsparseL19csxsldu_fill_kernelILj1024EL20rocsparse_diag_type_0ELS1_1EfiiEEvT4_PKT3_PKS2_PKT2_21rocsparse_index_base_S5_PS2_PS8_SB_S5_SC_SD_SB_SD_,@function
_ZN9rocsparseL19csxsldu_fill_kernelILj1024EL20rocsparse_diag_type_0ELS1_1EfiiEEvT4_PKT3_PKS2_PKT2_21rocsparse_index_base_S5_PS2_PS8_SB_S5_SC_SD_SB_SD_: ; @_ZN9rocsparseL19csxsldu_fill_kernelILj1024EL20rocsparse_diag_type_0ELS1_1EfiiEEvT4_PKT3_PKS2_PKT2_21rocsparse_index_base_S5_PS2_PS8_SB_S5_SC_SD_SB_SD_
; %bb.0:
	s_load_dword s0, s[4:5], 0x7c
	s_load_dword s1, s[4:5], 0x0
	s_waitcnt lgkmcnt(0)
	s_and_b32 s0, s0, 0xffff
	s_mul_i32 s6, s6, s0
	v_add_u32_e32 v2, s6, v0
	v_cmp_gt_i32_e32 vcc, s1, v2
	s_and_saveexec_b64 s[0:1], vcc
	s_cbranch_execz .LBB5_10
; %bb.1:
	s_load_dwordx4 s[8:11], s[4:5], 0x8
	s_load_dwordx2 s[16:17], s[4:5], 0x18
	s_load_dwordx4 s[0:3], s[4:5], 0x48
	v_ashrrev_i32_e32 v3, 31, v2
	v_lshlrev_b64 v[4:5], 2, v[2:3]
	s_waitcnt lgkmcnt(0)
	v_mov_b32_e32 v1, s9
	v_add_co_u32_e32 v0, vcc, s8, v4
	v_addc_co_u32_e32 v1, vcc, v1, v5, vcc
	global_load_dwordx2 v[6:7], v[0:1], off
	v_mov_b32_e32 v1, s1
	v_add_co_u32_e32 v0, vcc, s0, v4
	v_addc_co_u32_e32 v1, vcc, v1, v5, vcc
	global_load_dword v11, v[0:1], off
	s_load_dword s22, s[4:5], 0x20
	s_load_dwordx2 s[6:7], s[4:5], 0x58
	s_waitcnt vmcnt(1) lgkmcnt(0)
	v_subrev_u32_e32 v0, s22, v6
	v_subrev_u32_e32 v10, s22, v7
	v_cmp_lt_i32_e32 vcc, v6, v7
	s_and_saveexec_b64 s[8:9], vcc
	s_cbranch_execz .LBB5_7
; %bb.2:
	s_load_dwordx4 s[12:15], s[4:5], 0x28
	s_load_dwordx2 s[18:19], s[4:5], 0x38
	s_load_dword s23, s[4:5], 0x40
	v_mov_b32_e32 v8, s17
                                        ; implicit-def: $sgpr0_sgpr1
	s_waitcnt lgkmcnt(0)
	v_mov_b32_e32 v1, s13
	v_add_co_u32_e32 v4, vcc, s12, v4
	v_addc_co_u32_e32 v5, vcc, v1, v5, vcc
	global_load_dword v3, v[4:5], off
	v_ashrrev_i32_e32 v1, 31, v0
	v_lshlrev_b64 v[6:7], 2, v[0:1]
	v_mov_b32_e32 v5, s11
	v_add_co_u32_e32 v4, vcc, s10, v6
	v_addc_co_u32_e32 v5, vcc, v5, v7, vcc
	v_add_co_u32_e32 v6, vcc, s16, v6
	v_addc_co_u32_e32 v7, vcc, v8, v7, vcc
	s_mov_b64 s[12:13], 0
	s_waitcnt vmcnt(0)
	v_subrev_u32_e32 v8, s23, v3
	s_branch .LBB5_4
.LBB5_3:                                ;   in Loop: Header=BB5_4 Depth=1
	s_or_b64 exec, exec, s[20:21]
	s_and_b64 s[20:21], exec, s[0:1]
	s_or_b64 s[12:13], s[20:21], s[12:13]
	s_andn2_b64 exec, exec, s[12:13]
	s_cbranch_execz .LBB5_6
.LBB5_4:                                ; =>This Inner Loop Header: Depth=1
	global_load_dword v1, v[4:5], off
	s_or_b64 s[0:1], s[0:1], exec
	s_waitcnt vmcnt(0)
	v_subrev_u32_e32 v1, s22, v1
	v_cmp_ge_i32_e32 vcc, v2, v1
	s_and_saveexec_b64 s[20:21], vcc
	s_cbranch_execz .LBB5_3
; %bb.5:                                ;   in Loop: Header=BB5_4 Depth=1
	global_load_dword v3, v[6:7], off
	v_ashrrev_i32_e32 v9, 31, v8
	v_add_co_u32_e32 v4, vcc, 4, v4
	v_lshlrev_b64 v[12:13], 2, v[8:9]
	v_mov_b32_e32 v15, s19
	v_addc_co_u32_e32 v5, vcc, 0, v5, vcc
	s_andn2_b64 s[24:25], s[0:1], exec
	v_add_co_u32_e64 v14, s[0:1], s18, v12
	v_add_co_u32_e32 v6, vcc, 4, v6
	v_addc_co_u32_e64 v15, s[0:1], v15, v13, s[0:1]
	v_mov_b32_e32 v16, s15
	v_add_u32_e32 v0, 1, v0
	v_addc_co_u32_e32 v7, vcc, 0, v7, vcc
	v_add_co_u32_e64 v12, s[0:1], s14, v12
	v_cmp_ge_i32_e32 vcc, v0, v10
	v_addc_co_u32_e64 v13, s[0:1], v16, v13, s[0:1]
	s_and_b64 s[0:1], vcc, exec
	v_add_u32_e32 v1, s23, v1
	v_add_u32_e32 v8, 1, v8
	s_or_b64 s[0:1], s[24:25], s[0:1]
	global_store_dword v[12:13], v1, off
	s_waitcnt vmcnt(1)
	global_store_dword v[14:15], v3, off
	s_branch .LBB5_3
.LBB5_6:
	s_or_b64 exec, exec, s[12:13]
.LBB5_7:
	s_or_b64 exec, exec, s[8:9]
	v_cmp_lt_i32_e32 vcc, v0, v10
	s_and_b64 exec, exec, vcc
	s_cbranch_execz .LBB5_10
; %bb.8:
	s_load_dword s0, s[4:5], 0x60
	v_ashrrev_i32_e32 v1, 31, v0
	v_lshlrev_b64 v[4:5], 2, v[0:1]
	v_mov_b32_e32 v3, s11
	v_add_co_u32_e32 v2, vcc, s10, v4
	v_addc_co_u32_e32 v3, vcc, v3, v5, vcc
	v_mov_b32_e32 v1, s17
	v_add_co_u32_e32 v4, vcc, s16, v4
	s_waitcnt lgkmcnt(0)
	s_sub_i32 s8, s0, s22
	v_addc_co_u32_e32 v5, vcc, v1, v5, vcc
	s_waitcnt vmcnt(0)
	v_subrev_u32_e32 v6, s0, v11
	s_mov_b64 s[4:5], 0
	v_mov_b32_e32 v1, s3
	v_mov_b32_e32 v8, s7
.LBB5_9:                                ; =>This Inner Loop Header: Depth=1
	global_load_dword v9, v[2:3], off
	global_load_dword v11, v[4:5], off
	v_ashrrev_i32_e32 v7, 31, v6
	v_add_co_u32_e32 v2, vcc, 4, v2
	v_addc_co_u32_e32 v3, vcc, 0, v3, vcc
	v_lshlrev_b64 v[12:13], 2, v[6:7]
	v_add_co_u32_e32 v4, vcc, 4, v4
	v_add_co_u32_e64 v14, s[0:1], s2, v12
	v_add_u32_e32 v0, 1, v0
	v_addc_co_u32_e32 v5, vcc, 0, v5, vcc
	v_addc_co_u32_e64 v15, s[0:1], v1, v13, s[0:1]
	v_cmp_ge_i32_e32 vcc, v0, v10
	v_add_co_u32_e64 v12, s[0:1], s6, v12
	v_add_u32_e32 v6, 1, v6
	v_addc_co_u32_e64 v13, s[0:1], v8, v13, s[0:1]
	s_or_b64 s[4:5], vcc, s[4:5]
	s_waitcnt vmcnt(1)
	v_add_u32_e32 v7, s8, v9
	s_waitcnt vmcnt(0)
	global_store_dword v[12:13], v11, off
	global_store_dword v[14:15], v7, off
	s_andn2_b64 exec, exec, s[4:5]
	s_cbranch_execnz .LBB5_9
.LBB5_10:
	s_endpgm
	.section	.rodata,"a",@progbits
	.p2align	6, 0x0
	.amdhsa_kernel _ZN9rocsparseL19csxsldu_fill_kernelILj1024EL20rocsparse_diag_type_0ELS1_1EfiiEEvT4_PKT3_PKS2_PKT2_21rocsparse_index_base_S5_PS2_PS8_SB_S5_SC_SD_SB_SD_
		.amdhsa_group_segment_fixed_size 0
		.amdhsa_private_segment_fixed_size 0
		.amdhsa_kernarg_size 368
		.amdhsa_user_sgpr_count 6
		.amdhsa_user_sgpr_private_segment_buffer 1
		.amdhsa_user_sgpr_dispatch_ptr 0
		.amdhsa_user_sgpr_queue_ptr 0
		.amdhsa_user_sgpr_kernarg_segment_ptr 1
		.amdhsa_user_sgpr_dispatch_id 0
		.amdhsa_user_sgpr_flat_scratch_init 0
		.amdhsa_user_sgpr_kernarg_preload_length 0
		.amdhsa_user_sgpr_kernarg_preload_offset 0
		.amdhsa_user_sgpr_private_segment_size 0
		.amdhsa_uses_dynamic_stack 0
		.amdhsa_system_sgpr_private_segment_wavefront_offset 0
		.amdhsa_system_sgpr_workgroup_id_x 1
		.amdhsa_system_sgpr_workgroup_id_y 0
		.amdhsa_system_sgpr_workgroup_id_z 0
		.amdhsa_system_sgpr_workgroup_info 0
		.amdhsa_system_vgpr_workitem_id 0
		.amdhsa_next_free_vgpr 17
		.amdhsa_next_free_sgpr 26
		.amdhsa_accum_offset 20
		.amdhsa_reserve_vcc 1
		.amdhsa_reserve_flat_scratch 0
		.amdhsa_float_round_mode_32 0
		.amdhsa_float_round_mode_16_64 0
		.amdhsa_float_denorm_mode_32 3
		.amdhsa_float_denorm_mode_16_64 3
		.amdhsa_dx10_clamp 1
		.amdhsa_ieee_mode 1
		.amdhsa_fp16_overflow 0
		.amdhsa_tg_split 0
		.amdhsa_exception_fp_ieee_invalid_op 0
		.amdhsa_exception_fp_denorm_src 0
		.amdhsa_exception_fp_ieee_div_zero 0
		.amdhsa_exception_fp_ieee_overflow 0
		.amdhsa_exception_fp_ieee_underflow 0
		.amdhsa_exception_fp_ieee_inexact 0
		.amdhsa_exception_int_div_zero 0
	.end_amdhsa_kernel
	.section	.text._ZN9rocsparseL19csxsldu_fill_kernelILj1024EL20rocsparse_diag_type_0ELS1_1EfiiEEvT4_PKT3_PKS2_PKT2_21rocsparse_index_base_S5_PS2_PS8_SB_S5_SC_SD_SB_SD_,"axG",@progbits,_ZN9rocsparseL19csxsldu_fill_kernelILj1024EL20rocsparse_diag_type_0ELS1_1EfiiEEvT4_PKT3_PKS2_PKT2_21rocsparse_index_base_S5_PS2_PS8_SB_S5_SC_SD_SB_SD_,comdat
.Lfunc_end5:
	.size	_ZN9rocsparseL19csxsldu_fill_kernelILj1024EL20rocsparse_diag_type_0ELS1_1EfiiEEvT4_PKT3_PKS2_PKT2_21rocsparse_index_base_S5_PS2_PS8_SB_S5_SC_SD_SB_SD_, .Lfunc_end5-_ZN9rocsparseL19csxsldu_fill_kernelILj1024EL20rocsparse_diag_type_0ELS1_1EfiiEEvT4_PKT3_PKS2_PKT2_21rocsparse_index_base_S5_PS2_PS8_SB_S5_SC_SD_SB_SD_
                                        ; -- End function
	.section	.AMDGPU.csdata,"",@progbits
; Kernel info:
; codeLenInByte = 672
; NumSgprs: 30
; NumVgprs: 17
; NumAgprs: 0
; TotalNumVgprs: 17
; ScratchSize: 0
; MemoryBound: 0
; FloatMode: 240
; IeeeMode: 1
; LDSByteSize: 0 bytes/workgroup (compile time only)
; SGPRBlocks: 3
; VGPRBlocks: 2
; NumSGPRsForWavesPerEU: 30
; NumVGPRsForWavesPerEU: 17
; AccumOffset: 20
; Occupancy: 8
; WaveLimiterHint : 0
; COMPUTE_PGM_RSRC2:SCRATCH_EN: 0
; COMPUTE_PGM_RSRC2:USER_SGPR: 6
; COMPUTE_PGM_RSRC2:TRAP_HANDLER: 0
; COMPUTE_PGM_RSRC2:TGID_X_EN: 1
; COMPUTE_PGM_RSRC2:TGID_Y_EN: 0
; COMPUTE_PGM_RSRC2:TGID_Z_EN: 0
; COMPUTE_PGM_RSRC2:TIDIG_COMP_CNT: 0
; COMPUTE_PGM_RSRC3_GFX90A:ACCUM_OFFSET: 4
; COMPUTE_PGM_RSRC3_GFX90A:TG_SPLIT: 0
	.section	.text._ZN9rocsparseL19csxsldu_fill_kernelILj1024EL20rocsparse_diag_type_1ELS1_0EdiiEEvT4_PKT3_PKS2_PKT2_21rocsparse_index_base_S5_PS2_PS8_SB_S5_SC_SD_SB_SD_,"axG",@progbits,_ZN9rocsparseL19csxsldu_fill_kernelILj1024EL20rocsparse_diag_type_1ELS1_0EdiiEEvT4_PKT3_PKS2_PKT2_21rocsparse_index_base_S5_PS2_PS8_SB_S5_SC_SD_SB_SD_,comdat
	.globl	_ZN9rocsparseL19csxsldu_fill_kernelILj1024EL20rocsparse_diag_type_1ELS1_0EdiiEEvT4_PKT3_PKS2_PKT2_21rocsparse_index_base_S5_PS2_PS8_SB_S5_SC_SD_SB_SD_ ; -- Begin function _ZN9rocsparseL19csxsldu_fill_kernelILj1024EL20rocsparse_diag_type_1ELS1_0EdiiEEvT4_PKT3_PKS2_PKT2_21rocsparse_index_base_S5_PS2_PS8_SB_S5_SC_SD_SB_SD_
	.p2align	8
	.type	_ZN9rocsparseL19csxsldu_fill_kernelILj1024EL20rocsparse_diag_type_1ELS1_0EdiiEEvT4_PKT3_PKS2_PKT2_21rocsparse_index_base_S5_PS2_PS8_SB_S5_SC_SD_SB_SD_,@function
_ZN9rocsparseL19csxsldu_fill_kernelILj1024EL20rocsparse_diag_type_1ELS1_0EdiiEEvT4_PKT3_PKS2_PKT2_21rocsparse_index_base_S5_PS2_PS8_SB_S5_SC_SD_SB_SD_: ; @_ZN9rocsparseL19csxsldu_fill_kernelILj1024EL20rocsparse_diag_type_1ELS1_0EdiiEEvT4_PKT3_PKS2_PKT2_21rocsparse_index_base_S5_PS2_PS8_SB_S5_SC_SD_SB_SD_
; %bb.0:
	s_load_dword s0, s[4:5], 0x7c
	s_load_dword s1, s[4:5], 0x0
	s_waitcnt lgkmcnt(0)
	s_and_b32 s0, s0, 0xffff
	s_mul_i32 s6, s6, s0
	v_add_u32_e32 v2, s6, v0
	v_cmp_gt_i32_e32 vcc, s1, v2
	s_and_saveexec_b64 s[0:1], vcc
	s_cbranch_execz .LBB6_10
; %bb.1:
	s_load_dwordx4 s[8:11], s[4:5], 0x8
	s_load_dwordx2 s[16:17], s[4:5], 0x18
	s_load_dwordx4 s[0:3], s[4:5], 0x48
	v_ashrrev_i32_e32 v3, 31, v2
	v_lshlrev_b64 v[4:5], 2, v[2:3]
	s_waitcnt lgkmcnt(0)
	v_mov_b32_e32 v1, s9
	v_add_co_u32_e32 v0, vcc, s8, v4
	v_addc_co_u32_e32 v1, vcc, v1, v5, vcc
	global_load_dwordx2 v[6:7], v[0:1], off
	v_mov_b32_e32 v1, s1
	v_add_co_u32_e32 v0, vcc, s0, v4
	v_addc_co_u32_e32 v1, vcc, v1, v5, vcc
	global_load_dword v11, v[0:1], off
	s_load_dword s22, s[4:5], 0x20
	s_load_dwordx2 s[6:7], s[4:5], 0x58
	s_waitcnt vmcnt(1) lgkmcnt(0)
	v_subrev_u32_e32 v0, s22, v6
	v_subrev_u32_e32 v10, s22, v7
	v_cmp_lt_i32_e32 vcc, v6, v7
	s_and_saveexec_b64 s[8:9], vcc
	s_cbranch_execz .LBB6_7
; %bb.2:
	s_load_dwordx4 s[12:15], s[4:5], 0x28
	s_load_dwordx2 s[18:19], s[4:5], 0x38
	s_load_dword s23, s[4:5], 0x40
	v_mov_b32_e32 v8, s11
	v_mov_b32_e32 v9, s17
	s_waitcnt lgkmcnt(0)
	v_mov_b32_e32 v1, s13
	v_add_co_u32_e32 v4, vcc, s12, v4
	v_addc_co_u32_e32 v5, vcc, v1, v5, vcc
	global_load_dword v3, v[4:5], off
	v_ashrrev_i32_e32 v1, 31, v0
	v_lshlrev_b64 v[4:5], 2, v[0:1]
	v_add_co_u32_e32 v4, vcc, s10, v4
	v_lshlrev_b64 v[6:7], 3, v[0:1]
	v_addc_co_u32_e32 v5, vcc, v8, v5, vcc
	v_add_co_u32_e32 v6, vcc, s16, v6
	v_addc_co_u32_e32 v7, vcc, v9, v7, vcc
	s_mov_b64 s[12:13], 0
                                        ; implicit-def: $sgpr0_sgpr1
	s_waitcnt vmcnt(0)
	v_subrev_u32_e32 v8, s23, v3
	s_branch .LBB6_4
.LBB6_3:                                ;   in Loop: Header=BB6_4 Depth=1
	s_or_b64 exec, exec, s[20:21]
	s_and_b64 s[20:21], exec, s[0:1]
	s_or_b64 s[12:13], s[20:21], s[12:13]
	s_andn2_b64 exec, exec, s[12:13]
	s_cbranch_execz .LBB6_6
.LBB6_4:                                ; =>This Inner Loop Header: Depth=1
	global_load_dword v1, v[4:5], off
	s_or_b64 s[0:1], s[0:1], exec
	s_waitcnt vmcnt(0)
	v_subrev_u32_e32 v1, s22, v1
	v_cmp_gt_i32_e32 vcc, v2, v1
	s_and_saveexec_b64 s[20:21], vcc
	s_cbranch_execz .LBB6_3
; %bb.5:                                ;   in Loop: Header=BB6_4 Depth=1
	global_load_dwordx2 v[12:13], v[6:7], off
	v_ashrrev_i32_e32 v9, 31, v8
	v_add_co_u32_e32 v4, vcc, 4, v4
	v_lshlrev_b64 v[14:15], 3, v[8:9]
	v_mov_b32_e32 v3, s19
	v_addc_co_u32_e32 v5, vcc, 0, v5, vcc
	s_andn2_b64 s[24:25], s[0:1], exec
	v_add_co_u32_e64 v14, s[0:1], s18, v14
	v_add_co_u32_e32 v6, vcc, 8, v6
	v_lshlrev_b64 v[16:17], 2, v[8:9]
	v_addc_co_u32_e64 v15, s[0:1], v3, v15, s[0:1]
	v_mov_b32_e32 v18, s15
	v_add_u32_e32 v0, 1, v0
	v_addc_co_u32_e32 v7, vcc, 0, v7, vcc
	v_add_co_u32_e64 v16, s[0:1], s14, v16
	v_cmp_ge_i32_e32 vcc, v0, v10
	v_addc_co_u32_e64 v17, s[0:1], v18, v17, s[0:1]
	s_and_b64 s[0:1], vcc, exec
	v_add_u32_e32 v1, s23, v1
	v_add_u32_e32 v8, 1, v8
	s_or_b64 s[0:1], s[24:25], s[0:1]
	global_store_dword v[16:17], v1, off
	s_waitcnt vmcnt(1)
	global_store_dwordx2 v[14:15], v[12:13], off
	s_branch .LBB6_3
.LBB6_6:
	s_or_b64 exec, exec, s[12:13]
.LBB6_7:
	s_or_b64 exec, exec, s[8:9]
	v_cmp_lt_i32_e32 vcc, v0, v10
	s_and_b64 exec, exec, vcc
	s_cbranch_execz .LBB6_10
; %bb.8:
	s_load_dword s0, s[4:5], 0x60
	v_ashrrev_i32_e32 v1, 31, v0
	v_lshlrev_b64 v[2:3], 2, v[0:1]
	v_mov_b32_e32 v4, s11
	v_add_co_u32_e32 v2, vcc, s10, v2
	v_addc_co_u32_e32 v3, vcc, v4, v3, vcc
	v_lshlrev_b64 v[4:5], 3, v[0:1]
	v_mov_b32_e32 v1, s17
	v_add_co_u32_e32 v4, vcc, s16, v4
	s_waitcnt lgkmcnt(0)
	s_sub_i32 s8, s0, s22
	v_addc_co_u32_e32 v5, vcc, v1, v5, vcc
	s_waitcnt vmcnt(0)
	v_subrev_u32_e32 v6, s0, v11
	s_mov_b64 s[4:5], 0
	v_mov_b32_e32 v1, s3
	v_mov_b32_e32 v8, s7
.LBB6_9:                                ; =>This Inner Loop Header: Depth=1
	global_load_dword v9, v[2:3], off
	global_load_dwordx2 v[12:13], v[4:5], off
	v_ashrrev_i32_e32 v7, 31, v6
	v_add_co_u32_e32 v2, vcc, 4, v2
	v_addc_co_u32_e32 v3, vcc, 0, v3, vcc
	v_lshlrev_b64 v[14:15], 2, v[6:7]
	v_add_co_u32_e32 v4, vcc, 8, v4
	v_add_co_u32_e64 v14, s[0:1], s2, v14
	v_add_u32_e32 v0, 1, v0
	v_addc_co_u32_e32 v5, vcc, 0, v5, vcc
	v_lshlrev_b64 v[16:17], 3, v[6:7]
	v_addc_co_u32_e64 v15, s[0:1], v1, v15, s[0:1]
	v_cmp_ge_i32_e32 vcc, v0, v10
	v_add_co_u32_e64 v16, s[0:1], s6, v16
	v_add_u32_e32 v6, 1, v6
	v_addc_co_u32_e64 v17, s[0:1], v8, v17, s[0:1]
	s_or_b64 s[4:5], vcc, s[4:5]
	s_waitcnt vmcnt(1)
	v_add_u32_e32 v7, s8, v9
	s_waitcnt vmcnt(0)
	global_store_dwordx2 v[16:17], v[12:13], off
	global_store_dword v[14:15], v7, off
	s_andn2_b64 exec, exec, s[4:5]
	s_cbranch_execnz .LBB6_9
.LBB6_10:
	s_endpgm
	.section	.rodata,"a",@progbits
	.p2align	6, 0x0
	.amdhsa_kernel _ZN9rocsparseL19csxsldu_fill_kernelILj1024EL20rocsparse_diag_type_1ELS1_0EdiiEEvT4_PKT3_PKS2_PKT2_21rocsparse_index_base_S5_PS2_PS8_SB_S5_SC_SD_SB_SD_
		.amdhsa_group_segment_fixed_size 0
		.amdhsa_private_segment_fixed_size 0
		.amdhsa_kernarg_size 368
		.amdhsa_user_sgpr_count 6
		.amdhsa_user_sgpr_private_segment_buffer 1
		.amdhsa_user_sgpr_dispatch_ptr 0
		.amdhsa_user_sgpr_queue_ptr 0
		.amdhsa_user_sgpr_kernarg_segment_ptr 1
		.amdhsa_user_sgpr_dispatch_id 0
		.amdhsa_user_sgpr_flat_scratch_init 0
		.amdhsa_user_sgpr_kernarg_preload_length 0
		.amdhsa_user_sgpr_kernarg_preload_offset 0
		.amdhsa_user_sgpr_private_segment_size 0
		.amdhsa_uses_dynamic_stack 0
		.amdhsa_system_sgpr_private_segment_wavefront_offset 0
		.amdhsa_system_sgpr_workgroup_id_x 1
		.amdhsa_system_sgpr_workgroup_id_y 0
		.amdhsa_system_sgpr_workgroup_id_z 0
		.amdhsa_system_sgpr_workgroup_info 0
		.amdhsa_system_vgpr_workitem_id 0
		.amdhsa_next_free_vgpr 19
		.amdhsa_next_free_sgpr 26
		.amdhsa_accum_offset 20
		.amdhsa_reserve_vcc 1
		.amdhsa_reserve_flat_scratch 0
		.amdhsa_float_round_mode_32 0
		.amdhsa_float_round_mode_16_64 0
		.amdhsa_float_denorm_mode_32 3
		.amdhsa_float_denorm_mode_16_64 3
		.amdhsa_dx10_clamp 1
		.amdhsa_ieee_mode 1
		.amdhsa_fp16_overflow 0
		.amdhsa_tg_split 0
		.amdhsa_exception_fp_ieee_invalid_op 0
		.amdhsa_exception_fp_denorm_src 0
		.amdhsa_exception_fp_ieee_div_zero 0
		.amdhsa_exception_fp_ieee_overflow 0
		.amdhsa_exception_fp_ieee_underflow 0
		.amdhsa_exception_fp_ieee_inexact 0
		.amdhsa_exception_int_div_zero 0
	.end_amdhsa_kernel
	.section	.text._ZN9rocsparseL19csxsldu_fill_kernelILj1024EL20rocsparse_diag_type_1ELS1_0EdiiEEvT4_PKT3_PKS2_PKT2_21rocsparse_index_base_S5_PS2_PS8_SB_S5_SC_SD_SB_SD_,"axG",@progbits,_ZN9rocsparseL19csxsldu_fill_kernelILj1024EL20rocsparse_diag_type_1ELS1_0EdiiEEvT4_PKT3_PKS2_PKT2_21rocsparse_index_base_S5_PS2_PS8_SB_S5_SC_SD_SB_SD_,comdat
.Lfunc_end6:
	.size	_ZN9rocsparseL19csxsldu_fill_kernelILj1024EL20rocsparse_diag_type_1ELS1_0EdiiEEvT4_PKT3_PKS2_PKT2_21rocsparse_index_base_S5_PS2_PS8_SB_S5_SC_SD_SB_SD_, .Lfunc_end6-_ZN9rocsparseL19csxsldu_fill_kernelILj1024EL20rocsparse_diag_type_1ELS1_0EdiiEEvT4_PKT3_PKS2_PKT2_21rocsparse_index_base_S5_PS2_PS8_SB_S5_SC_SD_SB_SD_
                                        ; -- End function
	.section	.AMDGPU.csdata,"",@progbits
; Kernel info:
; codeLenInByte = 704
; NumSgprs: 30
; NumVgprs: 19
; NumAgprs: 0
; TotalNumVgprs: 19
; ScratchSize: 0
; MemoryBound: 0
; FloatMode: 240
; IeeeMode: 1
; LDSByteSize: 0 bytes/workgroup (compile time only)
; SGPRBlocks: 3
; VGPRBlocks: 2
; NumSGPRsForWavesPerEU: 30
; NumVGPRsForWavesPerEU: 19
; AccumOffset: 20
; Occupancy: 8
; WaveLimiterHint : 0
; COMPUTE_PGM_RSRC2:SCRATCH_EN: 0
; COMPUTE_PGM_RSRC2:USER_SGPR: 6
; COMPUTE_PGM_RSRC2:TRAP_HANDLER: 0
; COMPUTE_PGM_RSRC2:TGID_X_EN: 1
; COMPUTE_PGM_RSRC2:TGID_Y_EN: 0
; COMPUTE_PGM_RSRC2:TGID_Z_EN: 0
; COMPUTE_PGM_RSRC2:TIDIG_COMP_CNT: 0
; COMPUTE_PGM_RSRC3_GFX90A:ACCUM_OFFSET: 4
; COMPUTE_PGM_RSRC3_GFX90A:TG_SPLIT: 0
	.section	.text._ZN9rocsparseL19csxsldu_fill_kernelILj1024EL20rocsparse_diag_type_1ELS1_1EdiiEEvT4_PKT3_PKS2_PKT2_21rocsparse_index_base_S5_PS2_PS8_SB_S5_SC_SD_SB_SD_,"axG",@progbits,_ZN9rocsparseL19csxsldu_fill_kernelILj1024EL20rocsparse_diag_type_1ELS1_1EdiiEEvT4_PKT3_PKS2_PKT2_21rocsparse_index_base_S5_PS2_PS8_SB_S5_SC_SD_SB_SD_,comdat
	.globl	_ZN9rocsparseL19csxsldu_fill_kernelILj1024EL20rocsparse_diag_type_1ELS1_1EdiiEEvT4_PKT3_PKS2_PKT2_21rocsparse_index_base_S5_PS2_PS8_SB_S5_SC_SD_SB_SD_ ; -- Begin function _ZN9rocsparseL19csxsldu_fill_kernelILj1024EL20rocsparse_diag_type_1ELS1_1EdiiEEvT4_PKT3_PKS2_PKT2_21rocsparse_index_base_S5_PS2_PS8_SB_S5_SC_SD_SB_SD_
	.p2align	8
	.type	_ZN9rocsparseL19csxsldu_fill_kernelILj1024EL20rocsparse_diag_type_1ELS1_1EdiiEEvT4_PKT3_PKS2_PKT2_21rocsparse_index_base_S5_PS2_PS8_SB_S5_SC_SD_SB_SD_,@function
_ZN9rocsparseL19csxsldu_fill_kernelILj1024EL20rocsparse_diag_type_1ELS1_1EdiiEEvT4_PKT3_PKS2_PKT2_21rocsparse_index_base_S5_PS2_PS8_SB_S5_SC_SD_SB_SD_: ; @_ZN9rocsparseL19csxsldu_fill_kernelILj1024EL20rocsparse_diag_type_1ELS1_1EdiiEEvT4_PKT3_PKS2_PKT2_21rocsparse_index_base_S5_PS2_PS8_SB_S5_SC_SD_SB_SD_
; %bb.0:
	s_load_dword s0, s[4:5], 0x7c
	s_load_dword s1, s[4:5], 0x0
	s_waitcnt lgkmcnt(0)
	s_and_b32 s0, s0, 0xffff
	s_mul_i32 s6, s6, s0
	v_add_u32_e32 v2, s6, v0
	v_cmp_gt_i32_e32 vcc, s1, v2
	s_and_saveexec_b64 s[0:1], vcc
	s_cbranch_execz .LBB7_14
; %bb.1:
	s_load_dwordx4 s[8:11], s[4:5], 0x8
	s_load_dwordx2 s[16:17], s[4:5], 0x18
	s_load_dwordx4 s[0:3], s[4:5], 0x48
	v_ashrrev_i32_e32 v3, 31, v2
	v_lshlrev_b64 v[4:5], 2, v[2:3]
	s_waitcnt lgkmcnt(0)
	v_mov_b32_e32 v1, s9
	v_add_co_u32_e32 v0, vcc, s8, v4
	v_addc_co_u32_e32 v1, vcc, v1, v5, vcc
	global_load_dwordx2 v[6:7], v[0:1], off
	v_mov_b32_e32 v1, s1
	v_add_co_u32_e32 v0, vcc, s0, v4
	v_addc_co_u32_e32 v1, vcc, v1, v5, vcc
	global_load_dword v13, v[0:1], off
	s_load_dword s26, s[4:5], 0x20
	s_load_dwordx2 s[6:7], s[4:5], 0x58
	s_waitcnt vmcnt(1) lgkmcnt(0)
	v_subrev_u32_e32 v0, s26, v6
	v_subrev_u32_e32 v12, s26, v7
	v_cmp_lt_i32_e32 vcc, v6, v7
	s_and_saveexec_b64 s[8:9], vcc
	s_cbranch_execz .LBB7_11
; %bb.2:
	s_load_dwordx4 s[12:15], s[4:5], 0x28
	s_load_dwordx2 s[18:19], s[4:5], 0x38
	s_load_dword s27, s[4:5], 0x40
	v_mov_b32_e32 v7, s11
	v_mov_b32_e32 v11, s17
	s_waitcnt lgkmcnt(0)
	v_mov_b32_e32 v1, s13
	v_add_co_u32_e32 v4, vcc, s12, v4
	v_addc_co_u32_e32 v5, vcc, v1, v5, vcc
	global_load_dword v10, v[4:5], off
	v_ashrrev_i32_e32 v1, 31, v0
	v_lshlrev_b64 v[4:5], 2, v[0:1]
	v_add_co_u32_e32 v6, vcc, s10, v4
	v_lshlrev_b64 v[8:9], 3, v[0:1]
	v_addc_co_u32_e32 v7, vcc, v7, v5, vcc
	v_add_co_u32_e32 v8, vcc, s16, v8
	v_addc_co_u32_e32 v9, vcc, v11, v9, vcc
	s_mov_b64 s[20:21], 0
                                        ; implicit-def: $sgpr12_sgpr13
                                        ; implicit-def: $sgpr0_sgpr1
                                        ; implicit-def: $sgpr22_sgpr23
	s_waitcnt vmcnt(0)
	v_subrev_u32_e32 v10, s27, v10
	s_branch .LBB7_4
.LBB7_3:                                ;   in Loop: Header=BB7_4 Depth=1
	s_or_b64 exec, exec, s[24:25]
	s_and_b64 s[24:25], exec, s[0:1]
	s_or_b64 s[20:21], s[24:25], s[20:21]
	s_andn2_b64 s[12:13], s[12:13], exec
	s_and_b64 s[24:25], s[22:23], exec
	s_or_b64 s[12:13], s[12:13], s[24:25]
	s_andn2_b64 exec, exec, s[20:21]
	s_cbranch_execz .LBB7_6
.LBB7_4:                                ; =>This Inner Loop Header: Depth=1
	global_load_dword v11, v[6:7], off
	v_pk_mov_b32 v[4:5], v[0:1], v[0:1] op_sel:[0,1]
	s_or_b64 s[22:23], s[22:23], exec
	s_or_b64 s[0:1], s[0:1], exec
                                        ; implicit-def: $vgpr0_vgpr1
	s_waitcnt vmcnt(0)
	v_subrev_u32_e32 v14, s26, v11
	v_cmp_gt_i32_e32 vcc, v2, v14
	s_and_saveexec_b64 s[24:25], vcc
	s_cbranch_execz .LBB7_3
; %bb.5:                                ;   in Loop: Header=BB7_4 Depth=1
	global_load_dwordx2 v[16:17], v[8:9], off
	v_add_co_u32_e32 v0, vcc, 1, v4
	v_ashrrev_i32_e32 v11, 31, v10
	v_addc_co_u32_e32 v1, vcc, 0, v5, vcc
	v_add_co_u32_e32 v6, vcc, 4, v6
	v_lshlrev_b64 v[18:19], 3, v[10:11]
	v_mov_b32_e32 v15, s19
	v_addc_co_u32_e32 v7, vcc, 0, v7, vcc
	s_andn2_b64 s[28:29], s[0:1], exec
	v_add_co_u32_e64 v18, s[0:1], s18, v18
	v_add_co_u32_e32 v8, vcc, 8, v8
	v_lshlrev_b64 v[20:21], 2, v[10:11]
	v_addc_co_u32_e64 v19, s[0:1], v15, v19, s[0:1]
	v_mov_b32_e32 v22, s15
	v_addc_co_u32_e32 v9, vcc, 0, v9, vcc
	v_add_co_u32_e64 v20, s[0:1], s14, v20
	v_cmp_ge_i32_e32 vcc, v0, v12
	v_addc_co_u32_e64 v21, s[0:1], v22, v21, s[0:1]
	s_and_b64 s[0:1], vcc, exec
	v_add_u32_e32 v23, s27, v14
	s_andn2_b64 s[22:23], s[22:23], exec
	v_add_u32_e32 v10, 1, v10
	s_or_b64 s[0:1], s[28:29], s[0:1]
	global_store_dword v[20:21], v23, off
	s_waitcnt vmcnt(1)
	global_store_dwordx2 v[18:19], v[16:17], off
	s_branch .LBB7_3
.LBB7_6:
	s_or_b64 exec, exec, s[20:21]
	s_and_saveexec_b64 s[0:1], s[12:13]
	s_xor_b64 s[0:1], exec, s[0:1]
	s_cbranch_execz .LBB7_10
; %bb.7:
	v_cmp_eq_u32_e32 vcc, v14, v2
	s_and_saveexec_b64 s[12:13], vcc
	s_cbranch_execz .LBB7_9
; %bb.8:
	v_lshlrev_b64 v[0:1], 3, v[4:5]
	v_mov_b32_e32 v5, s17
	v_add_co_u32_e32 v0, vcc, s16, v0
	v_addc_co_u32_e32 v1, vcc, v5, v1, vcc
	global_load_dwordx2 v[0:1], v[0:1], off
	s_load_dwordx2 s[14:15], s[4:5], 0x68
	v_lshlrev_b64 v[2:3], 3, v[2:3]
	v_add_u32_e32 v4, 1, v4
	s_waitcnt lgkmcnt(0)
	v_mov_b32_e32 v5, s15
	v_add_co_u32_e32 v2, vcc, s14, v2
	v_addc_co_u32_e32 v3, vcc, v5, v3, vcc
	s_waitcnt vmcnt(0)
	global_store_dwordx2 v[2:3], v[0:1], off
.LBB7_9:
	s_or_b64 exec, exec, s[12:13]
	v_mov_b32_e32 v0, v4
.LBB7_10:
	s_or_b64 exec, exec, s[0:1]
.LBB7_11:
	s_or_b64 exec, exec, s[8:9]
	v_cmp_lt_i32_e32 vcc, v0, v12
	s_and_b64 exec, exec, vcc
	s_cbranch_execz .LBB7_14
; %bb.12:
	s_load_dword s0, s[4:5], 0x60
	v_ashrrev_i32_e32 v1, 31, v0
	v_lshlrev_b64 v[2:3], 2, v[0:1]
	v_mov_b32_e32 v4, s11
	v_add_co_u32_e32 v2, vcc, s10, v2
	v_addc_co_u32_e32 v3, vcc, v4, v3, vcc
	v_lshlrev_b64 v[4:5], 3, v[0:1]
	v_mov_b32_e32 v1, s17
	v_add_co_u32_e32 v4, vcc, s16, v4
	s_waitcnt lgkmcnt(0)
	s_sub_i32 s8, s0, s26
	v_addc_co_u32_e32 v5, vcc, v1, v5, vcc
	s_waitcnt vmcnt(0)
	v_subrev_u32_e32 v6, s0, v13
	s_mov_b64 s[4:5], 0
	v_mov_b32_e32 v1, s3
	v_mov_b32_e32 v8, s7
.LBB7_13:                               ; =>This Inner Loop Header: Depth=1
	global_load_dword v9, v[2:3], off
	global_load_dwordx2 v[10:11], v[4:5], off
	v_ashrrev_i32_e32 v7, 31, v6
	v_add_co_u32_e32 v2, vcc, 4, v2
	v_addc_co_u32_e32 v3, vcc, 0, v3, vcc
	v_lshlrev_b64 v[14:15], 2, v[6:7]
	v_add_co_u32_e32 v4, vcc, 8, v4
	v_add_co_u32_e64 v14, s[0:1], s2, v14
	v_add_u32_e32 v0, 1, v0
	v_addc_co_u32_e32 v5, vcc, 0, v5, vcc
	v_lshlrev_b64 v[16:17], 3, v[6:7]
	v_addc_co_u32_e64 v15, s[0:1], v1, v15, s[0:1]
	v_cmp_ge_i32_e32 vcc, v0, v12
	v_add_co_u32_e64 v16, s[0:1], s6, v16
	v_add_u32_e32 v6, 1, v6
	v_addc_co_u32_e64 v17, s[0:1], v8, v17, s[0:1]
	s_or_b64 s[4:5], vcc, s[4:5]
	s_waitcnt vmcnt(1)
	v_add_u32_e32 v7, s8, v9
	s_waitcnt vmcnt(0)
	global_store_dwordx2 v[16:17], v[10:11], off
	global_store_dword v[14:15], v7, off
	s_andn2_b64 exec, exec, s[4:5]
	s_cbranch_execnz .LBB7_13
.LBB7_14:
	s_endpgm
	.section	.rodata,"a",@progbits
	.p2align	6, 0x0
	.amdhsa_kernel _ZN9rocsparseL19csxsldu_fill_kernelILj1024EL20rocsparse_diag_type_1ELS1_1EdiiEEvT4_PKT3_PKS2_PKT2_21rocsparse_index_base_S5_PS2_PS8_SB_S5_SC_SD_SB_SD_
		.amdhsa_group_segment_fixed_size 0
		.amdhsa_private_segment_fixed_size 0
		.amdhsa_kernarg_size 368
		.amdhsa_user_sgpr_count 6
		.amdhsa_user_sgpr_private_segment_buffer 1
		.amdhsa_user_sgpr_dispatch_ptr 0
		.amdhsa_user_sgpr_queue_ptr 0
		.amdhsa_user_sgpr_kernarg_segment_ptr 1
		.amdhsa_user_sgpr_dispatch_id 0
		.amdhsa_user_sgpr_flat_scratch_init 0
		.amdhsa_user_sgpr_kernarg_preload_length 0
		.amdhsa_user_sgpr_kernarg_preload_offset 0
		.amdhsa_user_sgpr_private_segment_size 0
		.amdhsa_uses_dynamic_stack 0
		.amdhsa_system_sgpr_private_segment_wavefront_offset 0
		.amdhsa_system_sgpr_workgroup_id_x 1
		.amdhsa_system_sgpr_workgroup_id_y 0
		.amdhsa_system_sgpr_workgroup_id_z 0
		.amdhsa_system_sgpr_workgroup_info 0
		.amdhsa_system_vgpr_workitem_id 0
		.amdhsa_next_free_vgpr 24
		.amdhsa_next_free_sgpr 30
		.amdhsa_accum_offset 24
		.amdhsa_reserve_vcc 1
		.amdhsa_reserve_flat_scratch 0
		.amdhsa_float_round_mode_32 0
		.amdhsa_float_round_mode_16_64 0
		.amdhsa_float_denorm_mode_32 3
		.amdhsa_float_denorm_mode_16_64 3
		.amdhsa_dx10_clamp 1
		.amdhsa_ieee_mode 1
		.amdhsa_fp16_overflow 0
		.amdhsa_tg_split 0
		.amdhsa_exception_fp_ieee_invalid_op 0
		.amdhsa_exception_fp_denorm_src 0
		.amdhsa_exception_fp_ieee_div_zero 0
		.amdhsa_exception_fp_ieee_overflow 0
		.amdhsa_exception_fp_ieee_underflow 0
		.amdhsa_exception_fp_ieee_inexact 0
		.amdhsa_exception_int_div_zero 0
	.end_amdhsa_kernel
	.section	.text._ZN9rocsparseL19csxsldu_fill_kernelILj1024EL20rocsparse_diag_type_1ELS1_1EdiiEEvT4_PKT3_PKS2_PKT2_21rocsparse_index_base_S5_PS2_PS8_SB_S5_SC_SD_SB_SD_,"axG",@progbits,_ZN9rocsparseL19csxsldu_fill_kernelILj1024EL20rocsparse_diag_type_1ELS1_1EdiiEEvT4_PKT3_PKS2_PKT2_21rocsparse_index_base_S5_PS2_PS8_SB_S5_SC_SD_SB_SD_,comdat
.Lfunc_end7:
	.size	_ZN9rocsparseL19csxsldu_fill_kernelILj1024EL20rocsparse_diag_type_1ELS1_1EdiiEEvT4_PKT3_PKS2_PKT2_21rocsparse_index_base_S5_PS2_PS8_SB_S5_SC_SD_SB_SD_, .Lfunc_end7-_ZN9rocsparseL19csxsldu_fill_kernelILj1024EL20rocsparse_diag_type_1ELS1_1EdiiEEvT4_PKT3_PKS2_PKT2_21rocsparse_index_base_S5_PS2_PS8_SB_S5_SC_SD_SB_SD_
                                        ; -- End function
	.section	.AMDGPU.csdata,"",@progbits
; Kernel info:
; codeLenInByte = 848
; NumSgprs: 34
; NumVgprs: 24
; NumAgprs: 0
; TotalNumVgprs: 24
; ScratchSize: 0
; MemoryBound: 0
; FloatMode: 240
; IeeeMode: 1
; LDSByteSize: 0 bytes/workgroup (compile time only)
; SGPRBlocks: 4
; VGPRBlocks: 2
; NumSGPRsForWavesPerEU: 34
; NumVGPRsForWavesPerEU: 24
; AccumOffset: 24
; Occupancy: 8
; WaveLimiterHint : 0
; COMPUTE_PGM_RSRC2:SCRATCH_EN: 0
; COMPUTE_PGM_RSRC2:USER_SGPR: 6
; COMPUTE_PGM_RSRC2:TRAP_HANDLER: 0
; COMPUTE_PGM_RSRC2:TGID_X_EN: 1
; COMPUTE_PGM_RSRC2:TGID_Y_EN: 0
; COMPUTE_PGM_RSRC2:TGID_Z_EN: 0
; COMPUTE_PGM_RSRC2:TIDIG_COMP_CNT: 0
; COMPUTE_PGM_RSRC3_GFX90A:ACCUM_OFFSET: 5
; COMPUTE_PGM_RSRC3_GFX90A:TG_SPLIT: 0
	.section	.text._ZN9rocsparseL19csxsldu_fill_kernelILj1024EL20rocsparse_diag_type_0ELS1_1EdiiEEvT4_PKT3_PKS2_PKT2_21rocsparse_index_base_S5_PS2_PS8_SB_S5_SC_SD_SB_SD_,"axG",@progbits,_ZN9rocsparseL19csxsldu_fill_kernelILj1024EL20rocsparse_diag_type_0ELS1_1EdiiEEvT4_PKT3_PKS2_PKT2_21rocsparse_index_base_S5_PS2_PS8_SB_S5_SC_SD_SB_SD_,comdat
	.globl	_ZN9rocsparseL19csxsldu_fill_kernelILj1024EL20rocsparse_diag_type_0ELS1_1EdiiEEvT4_PKT3_PKS2_PKT2_21rocsparse_index_base_S5_PS2_PS8_SB_S5_SC_SD_SB_SD_ ; -- Begin function _ZN9rocsparseL19csxsldu_fill_kernelILj1024EL20rocsparse_diag_type_0ELS1_1EdiiEEvT4_PKT3_PKS2_PKT2_21rocsparse_index_base_S5_PS2_PS8_SB_S5_SC_SD_SB_SD_
	.p2align	8
	.type	_ZN9rocsparseL19csxsldu_fill_kernelILj1024EL20rocsparse_diag_type_0ELS1_1EdiiEEvT4_PKT3_PKS2_PKT2_21rocsparse_index_base_S5_PS2_PS8_SB_S5_SC_SD_SB_SD_,@function
_ZN9rocsparseL19csxsldu_fill_kernelILj1024EL20rocsparse_diag_type_0ELS1_1EdiiEEvT4_PKT3_PKS2_PKT2_21rocsparse_index_base_S5_PS2_PS8_SB_S5_SC_SD_SB_SD_: ; @_ZN9rocsparseL19csxsldu_fill_kernelILj1024EL20rocsparse_diag_type_0ELS1_1EdiiEEvT4_PKT3_PKS2_PKT2_21rocsparse_index_base_S5_PS2_PS8_SB_S5_SC_SD_SB_SD_
; %bb.0:
	s_load_dword s0, s[4:5], 0x7c
	s_load_dword s1, s[4:5], 0x0
	s_waitcnt lgkmcnt(0)
	s_and_b32 s0, s0, 0xffff
	s_mul_i32 s6, s6, s0
	v_add_u32_e32 v2, s6, v0
	v_cmp_gt_i32_e32 vcc, s1, v2
	s_and_saveexec_b64 s[0:1], vcc
	s_cbranch_execz .LBB8_10
; %bb.1:
	s_load_dwordx4 s[8:11], s[4:5], 0x8
	s_load_dwordx2 s[16:17], s[4:5], 0x18
	s_load_dwordx4 s[0:3], s[4:5], 0x48
	v_ashrrev_i32_e32 v3, 31, v2
	v_lshlrev_b64 v[4:5], 2, v[2:3]
	s_waitcnt lgkmcnt(0)
	v_mov_b32_e32 v1, s9
	v_add_co_u32_e32 v0, vcc, s8, v4
	v_addc_co_u32_e32 v1, vcc, v1, v5, vcc
	global_load_dwordx2 v[6:7], v[0:1], off
	v_mov_b32_e32 v1, s1
	v_add_co_u32_e32 v0, vcc, s0, v4
	v_addc_co_u32_e32 v1, vcc, v1, v5, vcc
	global_load_dword v11, v[0:1], off
	s_load_dword s22, s[4:5], 0x20
	s_load_dwordx2 s[6:7], s[4:5], 0x58
	s_waitcnt vmcnt(1) lgkmcnt(0)
	v_subrev_u32_e32 v0, s22, v6
	v_subrev_u32_e32 v10, s22, v7
	v_cmp_lt_i32_e32 vcc, v6, v7
	s_and_saveexec_b64 s[8:9], vcc
	s_cbranch_execz .LBB8_7
; %bb.2:
	s_load_dwordx4 s[12:15], s[4:5], 0x28
	s_load_dwordx2 s[18:19], s[4:5], 0x38
	s_load_dword s23, s[4:5], 0x40
	v_mov_b32_e32 v8, s11
	v_mov_b32_e32 v9, s17
	s_waitcnt lgkmcnt(0)
	v_mov_b32_e32 v1, s13
	v_add_co_u32_e32 v4, vcc, s12, v4
	v_addc_co_u32_e32 v5, vcc, v1, v5, vcc
	global_load_dword v3, v[4:5], off
	v_ashrrev_i32_e32 v1, 31, v0
	v_lshlrev_b64 v[4:5], 2, v[0:1]
	v_add_co_u32_e32 v4, vcc, s10, v4
	v_lshlrev_b64 v[6:7], 3, v[0:1]
	v_addc_co_u32_e32 v5, vcc, v8, v5, vcc
	v_add_co_u32_e32 v6, vcc, s16, v6
	v_addc_co_u32_e32 v7, vcc, v9, v7, vcc
	s_mov_b64 s[12:13], 0
                                        ; implicit-def: $sgpr0_sgpr1
	s_waitcnt vmcnt(0)
	v_subrev_u32_e32 v8, s23, v3
	s_branch .LBB8_4
.LBB8_3:                                ;   in Loop: Header=BB8_4 Depth=1
	s_or_b64 exec, exec, s[20:21]
	s_and_b64 s[20:21], exec, s[0:1]
	s_or_b64 s[12:13], s[20:21], s[12:13]
	s_andn2_b64 exec, exec, s[12:13]
	s_cbranch_execz .LBB8_6
.LBB8_4:                                ; =>This Inner Loop Header: Depth=1
	global_load_dword v1, v[4:5], off
	s_or_b64 s[0:1], s[0:1], exec
	s_waitcnt vmcnt(0)
	v_subrev_u32_e32 v1, s22, v1
	v_cmp_ge_i32_e32 vcc, v2, v1
	s_and_saveexec_b64 s[20:21], vcc
	s_cbranch_execz .LBB8_3
; %bb.5:                                ;   in Loop: Header=BB8_4 Depth=1
	global_load_dwordx2 v[12:13], v[6:7], off
	v_ashrrev_i32_e32 v9, 31, v8
	v_add_co_u32_e32 v4, vcc, 4, v4
	v_lshlrev_b64 v[14:15], 3, v[8:9]
	v_mov_b32_e32 v3, s19
	v_addc_co_u32_e32 v5, vcc, 0, v5, vcc
	s_andn2_b64 s[24:25], s[0:1], exec
	v_add_co_u32_e64 v14, s[0:1], s18, v14
	v_add_co_u32_e32 v6, vcc, 8, v6
	v_lshlrev_b64 v[16:17], 2, v[8:9]
	v_addc_co_u32_e64 v15, s[0:1], v3, v15, s[0:1]
	v_mov_b32_e32 v18, s15
	v_add_u32_e32 v0, 1, v0
	v_addc_co_u32_e32 v7, vcc, 0, v7, vcc
	v_add_co_u32_e64 v16, s[0:1], s14, v16
	v_cmp_ge_i32_e32 vcc, v0, v10
	v_addc_co_u32_e64 v17, s[0:1], v18, v17, s[0:1]
	s_and_b64 s[0:1], vcc, exec
	v_add_u32_e32 v1, s23, v1
	v_add_u32_e32 v8, 1, v8
	s_or_b64 s[0:1], s[24:25], s[0:1]
	global_store_dword v[16:17], v1, off
	s_waitcnt vmcnt(1)
	global_store_dwordx2 v[14:15], v[12:13], off
	s_branch .LBB8_3
.LBB8_6:
	s_or_b64 exec, exec, s[12:13]
.LBB8_7:
	s_or_b64 exec, exec, s[8:9]
	v_cmp_lt_i32_e32 vcc, v0, v10
	s_and_b64 exec, exec, vcc
	s_cbranch_execz .LBB8_10
; %bb.8:
	s_load_dword s0, s[4:5], 0x60
	v_ashrrev_i32_e32 v1, 31, v0
	v_lshlrev_b64 v[2:3], 2, v[0:1]
	v_mov_b32_e32 v4, s11
	v_add_co_u32_e32 v2, vcc, s10, v2
	v_addc_co_u32_e32 v3, vcc, v4, v3, vcc
	v_lshlrev_b64 v[4:5], 3, v[0:1]
	v_mov_b32_e32 v1, s17
	v_add_co_u32_e32 v4, vcc, s16, v4
	s_waitcnt lgkmcnt(0)
	s_sub_i32 s8, s0, s22
	v_addc_co_u32_e32 v5, vcc, v1, v5, vcc
	s_waitcnt vmcnt(0)
	v_subrev_u32_e32 v6, s0, v11
	s_mov_b64 s[4:5], 0
	v_mov_b32_e32 v1, s3
	v_mov_b32_e32 v8, s7
.LBB8_9:                                ; =>This Inner Loop Header: Depth=1
	global_load_dword v9, v[2:3], off
	global_load_dwordx2 v[12:13], v[4:5], off
	v_ashrrev_i32_e32 v7, 31, v6
	v_add_co_u32_e32 v2, vcc, 4, v2
	v_addc_co_u32_e32 v3, vcc, 0, v3, vcc
	v_lshlrev_b64 v[14:15], 2, v[6:7]
	v_add_co_u32_e32 v4, vcc, 8, v4
	v_add_co_u32_e64 v14, s[0:1], s2, v14
	v_add_u32_e32 v0, 1, v0
	v_addc_co_u32_e32 v5, vcc, 0, v5, vcc
	v_lshlrev_b64 v[16:17], 3, v[6:7]
	v_addc_co_u32_e64 v15, s[0:1], v1, v15, s[0:1]
	v_cmp_ge_i32_e32 vcc, v0, v10
	v_add_co_u32_e64 v16, s[0:1], s6, v16
	v_add_u32_e32 v6, 1, v6
	v_addc_co_u32_e64 v17, s[0:1], v8, v17, s[0:1]
	s_or_b64 s[4:5], vcc, s[4:5]
	s_waitcnt vmcnt(1)
	v_add_u32_e32 v7, s8, v9
	s_waitcnt vmcnt(0)
	global_store_dwordx2 v[16:17], v[12:13], off
	global_store_dword v[14:15], v7, off
	s_andn2_b64 exec, exec, s[4:5]
	s_cbranch_execnz .LBB8_9
.LBB8_10:
	s_endpgm
	.section	.rodata,"a",@progbits
	.p2align	6, 0x0
	.amdhsa_kernel _ZN9rocsparseL19csxsldu_fill_kernelILj1024EL20rocsparse_diag_type_0ELS1_1EdiiEEvT4_PKT3_PKS2_PKT2_21rocsparse_index_base_S5_PS2_PS8_SB_S5_SC_SD_SB_SD_
		.amdhsa_group_segment_fixed_size 0
		.amdhsa_private_segment_fixed_size 0
		.amdhsa_kernarg_size 368
		.amdhsa_user_sgpr_count 6
		.amdhsa_user_sgpr_private_segment_buffer 1
		.amdhsa_user_sgpr_dispatch_ptr 0
		.amdhsa_user_sgpr_queue_ptr 0
		.amdhsa_user_sgpr_kernarg_segment_ptr 1
		.amdhsa_user_sgpr_dispatch_id 0
		.amdhsa_user_sgpr_flat_scratch_init 0
		.amdhsa_user_sgpr_kernarg_preload_length 0
		.amdhsa_user_sgpr_kernarg_preload_offset 0
		.amdhsa_user_sgpr_private_segment_size 0
		.amdhsa_uses_dynamic_stack 0
		.amdhsa_system_sgpr_private_segment_wavefront_offset 0
		.amdhsa_system_sgpr_workgroup_id_x 1
		.amdhsa_system_sgpr_workgroup_id_y 0
		.amdhsa_system_sgpr_workgroup_id_z 0
		.amdhsa_system_sgpr_workgroup_info 0
		.amdhsa_system_vgpr_workitem_id 0
		.amdhsa_next_free_vgpr 19
		.amdhsa_next_free_sgpr 26
		.amdhsa_accum_offset 20
		.amdhsa_reserve_vcc 1
		.amdhsa_reserve_flat_scratch 0
		.amdhsa_float_round_mode_32 0
		.amdhsa_float_round_mode_16_64 0
		.amdhsa_float_denorm_mode_32 3
		.amdhsa_float_denorm_mode_16_64 3
		.amdhsa_dx10_clamp 1
		.amdhsa_ieee_mode 1
		.amdhsa_fp16_overflow 0
		.amdhsa_tg_split 0
		.amdhsa_exception_fp_ieee_invalid_op 0
		.amdhsa_exception_fp_denorm_src 0
		.amdhsa_exception_fp_ieee_div_zero 0
		.amdhsa_exception_fp_ieee_overflow 0
		.amdhsa_exception_fp_ieee_underflow 0
		.amdhsa_exception_fp_ieee_inexact 0
		.amdhsa_exception_int_div_zero 0
	.end_amdhsa_kernel
	.section	.text._ZN9rocsparseL19csxsldu_fill_kernelILj1024EL20rocsparse_diag_type_0ELS1_1EdiiEEvT4_PKT3_PKS2_PKT2_21rocsparse_index_base_S5_PS2_PS8_SB_S5_SC_SD_SB_SD_,"axG",@progbits,_ZN9rocsparseL19csxsldu_fill_kernelILj1024EL20rocsparse_diag_type_0ELS1_1EdiiEEvT4_PKT3_PKS2_PKT2_21rocsparse_index_base_S5_PS2_PS8_SB_S5_SC_SD_SB_SD_,comdat
.Lfunc_end8:
	.size	_ZN9rocsparseL19csxsldu_fill_kernelILj1024EL20rocsparse_diag_type_0ELS1_1EdiiEEvT4_PKT3_PKS2_PKT2_21rocsparse_index_base_S5_PS2_PS8_SB_S5_SC_SD_SB_SD_, .Lfunc_end8-_ZN9rocsparseL19csxsldu_fill_kernelILj1024EL20rocsparse_diag_type_0ELS1_1EdiiEEvT4_PKT3_PKS2_PKT2_21rocsparse_index_base_S5_PS2_PS8_SB_S5_SC_SD_SB_SD_
                                        ; -- End function
	.section	.AMDGPU.csdata,"",@progbits
; Kernel info:
; codeLenInByte = 704
; NumSgprs: 30
; NumVgprs: 19
; NumAgprs: 0
; TotalNumVgprs: 19
; ScratchSize: 0
; MemoryBound: 0
; FloatMode: 240
; IeeeMode: 1
; LDSByteSize: 0 bytes/workgroup (compile time only)
; SGPRBlocks: 3
; VGPRBlocks: 2
; NumSGPRsForWavesPerEU: 30
; NumVGPRsForWavesPerEU: 19
; AccumOffset: 20
; Occupancy: 8
; WaveLimiterHint : 0
; COMPUTE_PGM_RSRC2:SCRATCH_EN: 0
; COMPUTE_PGM_RSRC2:USER_SGPR: 6
; COMPUTE_PGM_RSRC2:TRAP_HANDLER: 0
; COMPUTE_PGM_RSRC2:TGID_X_EN: 1
; COMPUTE_PGM_RSRC2:TGID_Y_EN: 0
; COMPUTE_PGM_RSRC2:TGID_Z_EN: 0
; COMPUTE_PGM_RSRC2:TIDIG_COMP_CNT: 0
; COMPUTE_PGM_RSRC3_GFX90A:ACCUM_OFFSET: 4
; COMPUTE_PGM_RSRC3_GFX90A:TG_SPLIT: 0
	.section	.text._ZN9rocsparseL19csxsldu_fill_kernelILj1024EL20rocsparse_diag_type_1ELS1_0E21rocsparse_complex_numIfEiiEEvT4_PKT3_PKS4_PKT2_21rocsparse_index_base_S7_PS4_PSA_SD_S7_SE_SF_SD_SF_,"axG",@progbits,_ZN9rocsparseL19csxsldu_fill_kernelILj1024EL20rocsparse_diag_type_1ELS1_0E21rocsparse_complex_numIfEiiEEvT4_PKT3_PKS4_PKT2_21rocsparse_index_base_S7_PS4_PSA_SD_S7_SE_SF_SD_SF_,comdat
	.globl	_ZN9rocsparseL19csxsldu_fill_kernelILj1024EL20rocsparse_diag_type_1ELS1_0E21rocsparse_complex_numIfEiiEEvT4_PKT3_PKS4_PKT2_21rocsparse_index_base_S7_PS4_PSA_SD_S7_SE_SF_SD_SF_ ; -- Begin function _ZN9rocsparseL19csxsldu_fill_kernelILj1024EL20rocsparse_diag_type_1ELS1_0E21rocsparse_complex_numIfEiiEEvT4_PKT3_PKS4_PKT2_21rocsparse_index_base_S7_PS4_PSA_SD_S7_SE_SF_SD_SF_
	.p2align	8
	.type	_ZN9rocsparseL19csxsldu_fill_kernelILj1024EL20rocsparse_diag_type_1ELS1_0E21rocsparse_complex_numIfEiiEEvT4_PKT3_PKS4_PKT2_21rocsparse_index_base_S7_PS4_PSA_SD_S7_SE_SF_SD_SF_,@function
_ZN9rocsparseL19csxsldu_fill_kernelILj1024EL20rocsparse_diag_type_1ELS1_0E21rocsparse_complex_numIfEiiEEvT4_PKT3_PKS4_PKT2_21rocsparse_index_base_S7_PS4_PSA_SD_S7_SE_SF_SD_SF_: ; @_ZN9rocsparseL19csxsldu_fill_kernelILj1024EL20rocsparse_diag_type_1ELS1_0E21rocsparse_complex_numIfEiiEEvT4_PKT3_PKS4_PKT2_21rocsparse_index_base_S7_PS4_PSA_SD_S7_SE_SF_SD_SF_
; %bb.0:
	s_load_dword s0, s[4:5], 0x7c
	s_load_dword s1, s[4:5], 0x0
	s_waitcnt lgkmcnt(0)
	s_and_b32 s0, s0, 0xffff
	s_mul_i32 s6, s6, s0
	v_add_u32_e32 v2, s6, v0
	v_cmp_gt_i32_e32 vcc, s1, v2
	s_and_saveexec_b64 s[0:1], vcc
	s_cbranch_execz .LBB9_10
; %bb.1:
	s_load_dwordx4 s[8:11], s[4:5], 0x8
	s_load_dwordx2 s[16:17], s[4:5], 0x18
	s_load_dwordx4 s[0:3], s[4:5], 0x48
	v_ashrrev_i32_e32 v3, 31, v2
	v_lshlrev_b64 v[4:5], 2, v[2:3]
	s_waitcnt lgkmcnt(0)
	v_mov_b32_e32 v1, s9
	v_add_co_u32_e32 v0, vcc, s8, v4
	v_addc_co_u32_e32 v1, vcc, v1, v5, vcc
	global_load_dwordx2 v[6:7], v[0:1], off
	v_mov_b32_e32 v1, s1
	v_add_co_u32_e32 v0, vcc, s0, v4
	v_addc_co_u32_e32 v1, vcc, v1, v5, vcc
	global_load_dword v11, v[0:1], off
	s_load_dword s22, s[4:5], 0x20
	s_load_dwordx2 s[6:7], s[4:5], 0x58
	s_waitcnt vmcnt(1) lgkmcnt(0)
	v_subrev_u32_e32 v0, s22, v6
	v_subrev_u32_e32 v10, s22, v7
	v_cmp_lt_i32_e32 vcc, v6, v7
	s_and_saveexec_b64 s[8:9], vcc
	s_cbranch_execz .LBB9_7
; %bb.2:
	s_load_dwordx4 s[12:15], s[4:5], 0x28
	s_load_dwordx2 s[18:19], s[4:5], 0x38
	s_load_dword s23, s[4:5], 0x40
	v_mov_b32_e32 v8, s11
	v_mov_b32_e32 v9, s17
	s_waitcnt lgkmcnt(0)
	v_mov_b32_e32 v1, s13
	v_add_co_u32_e32 v4, vcc, s12, v4
	v_addc_co_u32_e32 v5, vcc, v1, v5, vcc
	global_load_dword v3, v[4:5], off
	v_ashrrev_i32_e32 v1, 31, v0
	v_lshlrev_b64 v[4:5], 2, v[0:1]
	v_add_co_u32_e32 v4, vcc, s10, v4
	v_lshlrev_b64 v[6:7], 3, v[0:1]
	v_addc_co_u32_e32 v5, vcc, v8, v5, vcc
	v_add_co_u32_e32 v6, vcc, s16, v6
	v_addc_co_u32_e32 v7, vcc, v9, v7, vcc
	s_mov_b64 s[12:13], 0
                                        ; implicit-def: $sgpr0_sgpr1
	s_waitcnt vmcnt(0)
	v_subrev_u32_e32 v8, s23, v3
	s_branch .LBB9_4
.LBB9_3:                                ;   in Loop: Header=BB9_4 Depth=1
	s_or_b64 exec, exec, s[20:21]
	s_and_b64 s[20:21], exec, s[0:1]
	s_or_b64 s[12:13], s[20:21], s[12:13]
	s_andn2_b64 exec, exec, s[12:13]
	s_cbranch_execz .LBB9_6
.LBB9_4:                                ; =>This Inner Loop Header: Depth=1
	global_load_dword v1, v[4:5], off
	s_or_b64 s[0:1], s[0:1], exec
	s_waitcnt vmcnt(0)
	v_subrev_u32_e32 v1, s22, v1
	v_cmp_gt_i32_e32 vcc, v2, v1
	s_and_saveexec_b64 s[20:21], vcc
	s_cbranch_execz .LBB9_3
; %bb.5:                                ;   in Loop: Header=BB9_4 Depth=1
	v_ashrrev_i32_e32 v9, 31, v8
	v_lshlrev_b64 v[12:13], 2, v[8:9]
	v_mov_b32_e32 v3, s15
	v_add_co_u32_e32 v12, vcc, s14, v12
	v_addc_co_u32_e32 v13, vcc, v3, v13, vcc
	v_add_u32_e32 v1, s23, v1
	global_store_dword v[12:13], v1, off
	global_load_dwordx2 v[12:13], v[6:7], off
	v_add_co_u32_e32 v4, vcc, 4, v4
	v_lshlrev_b64 v[14:15], 3, v[8:9]
	v_mov_b32_e32 v1, s19
	v_add_u32_e32 v0, 1, v0
	v_addc_co_u32_e32 v5, vcc, 0, v5, vcc
	s_andn2_b64 s[24:25], s[0:1], exec
	v_add_co_u32_e64 v14, s[0:1], s18, v14
	v_cmp_ge_i32_e32 vcc, v0, v10
	v_addc_co_u32_e64 v15, s[0:1], v1, v15, s[0:1]
	s_and_b64 s[0:1], vcc, exec
	v_add_co_u32_e32 v6, vcc, 8, v6
	v_add_u32_e32 v8, 1, v8
	v_addc_co_u32_e32 v7, vcc, 0, v7, vcc
	s_or_b64 s[0:1], s[24:25], s[0:1]
	s_waitcnt vmcnt(0)
	global_store_dwordx2 v[14:15], v[12:13], off
	s_branch .LBB9_3
.LBB9_6:
	s_or_b64 exec, exec, s[12:13]
.LBB9_7:
	s_or_b64 exec, exec, s[8:9]
	v_cmp_lt_i32_e32 vcc, v0, v10
	s_and_b64 exec, exec, vcc
	s_cbranch_execz .LBB9_10
; %bb.8:
	s_load_dword s0, s[4:5], 0x60
	v_ashrrev_i32_e32 v1, 31, v0
	v_lshlrev_b64 v[2:3], 2, v[0:1]
	v_mov_b32_e32 v4, s11
	v_add_co_u32_e32 v2, vcc, s10, v2
	v_addc_co_u32_e32 v3, vcc, v4, v3, vcc
	v_lshlrev_b64 v[4:5], 3, v[0:1]
	v_mov_b32_e32 v1, s17
	v_add_co_u32_e32 v4, vcc, s16, v4
	s_waitcnt lgkmcnt(0)
	s_sub_i32 s8, s0, s22
	v_addc_co_u32_e32 v5, vcc, v1, v5, vcc
	s_waitcnt vmcnt(0)
	v_subrev_u32_e32 v6, s0, v11
	s_mov_b64 s[4:5], 0
	v_mov_b32_e32 v1, s3
	v_mov_b32_e32 v8, s7
.LBB9_9:                                ; =>This Inner Loop Header: Depth=1
	global_load_dword v9, v[2:3], off
	v_ashrrev_i32_e32 v7, 31, v6
	v_lshlrev_b64 v[12:13], 2, v[6:7]
	v_add_co_u32_e32 v12, vcc, s2, v12
	v_addc_co_u32_e32 v13, vcc, v1, v13, vcc
	v_add_co_u32_e32 v2, vcc, 4, v2
	v_add_u32_e32 v0, 1, v0
	v_addc_co_u32_e32 v3, vcc, 0, v3, vcc
	v_lshlrev_b64 v[14:15], 3, v[6:7]
	v_cmp_ge_i32_e32 vcc, v0, v10
	v_add_co_u32_e64 v14, s[0:1], s6, v14
	s_or_b64 s[4:5], vcc, s[4:5]
	v_add_u32_e32 v6, 1, v6
	v_addc_co_u32_e64 v15, s[0:1], v8, v15, s[0:1]
	s_waitcnt vmcnt(0)
	v_add_u32_e32 v9, s8, v9
	global_store_dword v[12:13], v9, off
	global_load_dwordx2 v[12:13], v[4:5], off
	v_add_co_u32_e32 v4, vcc, 8, v4
	v_addc_co_u32_e32 v5, vcc, 0, v5, vcc
	s_waitcnt vmcnt(0)
	global_store_dwordx2 v[14:15], v[12:13], off
	s_andn2_b64 exec, exec, s[4:5]
	s_cbranch_execnz .LBB9_9
.LBB9_10:
	s_endpgm
	.section	.rodata,"a",@progbits
	.p2align	6, 0x0
	.amdhsa_kernel _ZN9rocsparseL19csxsldu_fill_kernelILj1024EL20rocsparse_diag_type_1ELS1_0E21rocsparse_complex_numIfEiiEEvT4_PKT3_PKS4_PKT2_21rocsparse_index_base_S7_PS4_PSA_SD_S7_SE_SF_SD_SF_
		.amdhsa_group_segment_fixed_size 0
		.amdhsa_private_segment_fixed_size 0
		.amdhsa_kernarg_size 368
		.amdhsa_user_sgpr_count 6
		.amdhsa_user_sgpr_private_segment_buffer 1
		.amdhsa_user_sgpr_dispatch_ptr 0
		.amdhsa_user_sgpr_queue_ptr 0
		.amdhsa_user_sgpr_kernarg_segment_ptr 1
		.amdhsa_user_sgpr_dispatch_id 0
		.amdhsa_user_sgpr_flat_scratch_init 0
		.amdhsa_user_sgpr_kernarg_preload_length 0
		.amdhsa_user_sgpr_kernarg_preload_offset 0
		.amdhsa_user_sgpr_private_segment_size 0
		.amdhsa_uses_dynamic_stack 0
		.amdhsa_system_sgpr_private_segment_wavefront_offset 0
		.amdhsa_system_sgpr_workgroup_id_x 1
		.amdhsa_system_sgpr_workgroup_id_y 0
		.amdhsa_system_sgpr_workgroup_id_z 0
		.amdhsa_system_sgpr_workgroup_info 0
		.amdhsa_system_vgpr_workitem_id 0
		.amdhsa_next_free_vgpr 16
		.amdhsa_next_free_sgpr 26
		.amdhsa_accum_offset 16
		.amdhsa_reserve_vcc 1
		.amdhsa_reserve_flat_scratch 0
		.amdhsa_float_round_mode_32 0
		.amdhsa_float_round_mode_16_64 0
		.amdhsa_float_denorm_mode_32 3
		.amdhsa_float_denorm_mode_16_64 3
		.amdhsa_dx10_clamp 1
		.amdhsa_ieee_mode 1
		.amdhsa_fp16_overflow 0
		.amdhsa_tg_split 0
		.amdhsa_exception_fp_ieee_invalid_op 0
		.amdhsa_exception_fp_denorm_src 0
		.amdhsa_exception_fp_ieee_div_zero 0
		.amdhsa_exception_fp_ieee_overflow 0
		.amdhsa_exception_fp_ieee_underflow 0
		.amdhsa_exception_fp_ieee_inexact 0
		.amdhsa_exception_int_div_zero 0
	.end_amdhsa_kernel
	.section	.text._ZN9rocsparseL19csxsldu_fill_kernelILj1024EL20rocsparse_diag_type_1ELS1_0E21rocsparse_complex_numIfEiiEEvT4_PKT3_PKS4_PKT2_21rocsparse_index_base_S7_PS4_PSA_SD_S7_SE_SF_SD_SF_,"axG",@progbits,_ZN9rocsparseL19csxsldu_fill_kernelILj1024EL20rocsparse_diag_type_1ELS1_0E21rocsparse_complex_numIfEiiEEvT4_PKT3_PKS4_PKT2_21rocsparse_index_base_S7_PS4_PSA_SD_S7_SE_SF_SD_SF_,comdat
.Lfunc_end9:
	.size	_ZN9rocsparseL19csxsldu_fill_kernelILj1024EL20rocsparse_diag_type_1ELS1_0E21rocsparse_complex_numIfEiiEEvT4_PKT3_PKS4_PKT2_21rocsparse_index_base_S7_PS4_PSA_SD_S7_SE_SF_SD_SF_, .Lfunc_end9-_ZN9rocsparseL19csxsldu_fill_kernelILj1024EL20rocsparse_diag_type_1ELS1_0E21rocsparse_complex_numIfEiiEEvT4_PKT3_PKS4_PKT2_21rocsparse_index_base_S7_PS4_PSA_SD_S7_SE_SF_SD_SF_
                                        ; -- End function
	.section	.AMDGPU.csdata,"",@progbits
; Kernel info:
; codeLenInByte = 688
; NumSgprs: 30
; NumVgprs: 16
; NumAgprs: 0
; TotalNumVgprs: 16
; ScratchSize: 0
; MemoryBound: 0
; FloatMode: 240
; IeeeMode: 1
; LDSByteSize: 0 bytes/workgroup (compile time only)
; SGPRBlocks: 3
; VGPRBlocks: 1
; NumSGPRsForWavesPerEU: 30
; NumVGPRsForWavesPerEU: 16
; AccumOffset: 16
; Occupancy: 8
; WaveLimiterHint : 0
; COMPUTE_PGM_RSRC2:SCRATCH_EN: 0
; COMPUTE_PGM_RSRC2:USER_SGPR: 6
; COMPUTE_PGM_RSRC2:TRAP_HANDLER: 0
; COMPUTE_PGM_RSRC2:TGID_X_EN: 1
; COMPUTE_PGM_RSRC2:TGID_Y_EN: 0
; COMPUTE_PGM_RSRC2:TGID_Z_EN: 0
; COMPUTE_PGM_RSRC2:TIDIG_COMP_CNT: 0
; COMPUTE_PGM_RSRC3_GFX90A:ACCUM_OFFSET: 3
; COMPUTE_PGM_RSRC3_GFX90A:TG_SPLIT: 0
	.section	.text._ZN9rocsparseL19csxsldu_fill_kernelILj1024EL20rocsparse_diag_type_1ELS1_1E21rocsparse_complex_numIfEiiEEvT4_PKT3_PKS4_PKT2_21rocsparse_index_base_S7_PS4_PSA_SD_S7_SE_SF_SD_SF_,"axG",@progbits,_ZN9rocsparseL19csxsldu_fill_kernelILj1024EL20rocsparse_diag_type_1ELS1_1E21rocsparse_complex_numIfEiiEEvT4_PKT3_PKS4_PKT2_21rocsparse_index_base_S7_PS4_PSA_SD_S7_SE_SF_SD_SF_,comdat
	.globl	_ZN9rocsparseL19csxsldu_fill_kernelILj1024EL20rocsparse_diag_type_1ELS1_1E21rocsparse_complex_numIfEiiEEvT4_PKT3_PKS4_PKT2_21rocsparse_index_base_S7_PS4_PSA_SD_S7_SE_SF_SD_SF_ ; -- Begin function _ZN9rocsparseL19csxsldu_fill_kernelILj1024EL20rocsparse_diag_type_1ELS1_1E21rocsparse_complex_numIfEiiEEvT4_PKT3_PKS4_PKT2_21rocsparse_index_base_S7_PS4_PSA_SD_S7_SE_SF_SD_SF_
	.p2align	8
	.type	_ZN9rocsparseL19csxsldu_fill_kernelILj1024EL20rocsparse_diag_type_1ELS1_1E21rocsparse_complex_numIfEiiEEvT4_PKT3_PKS4_PKT2_21rocsparse_index_base_S7_PS4_PSA_SD_S7_SE_SF_SD_SF_,@function
_ZN9rocsparseL19csxsldu_fill_kernelILj1024EL20rocsparse_diag_type_1ELS1_1E21rocsparse_complex_numIfEiiEEvT4_PKT3_PKS4_PKT2_21rocsparse_index_base_S7_PS4_PSA_SD_S7_SE_SF_SD_SF_: ; @_ZN9rocsparseL19csxsldu_fill_kernelILj1024EL20rocsparse_diag_type_1ELS1_1E21rocsparse_complex_numIfEiiEEvT4_PKT3_PKS4_PKT2_21rocsparse_index_base_S7_PS4_PSA_SD_S7_SE_SF_SD_SF_
; %bb.0:
	s_load_dword s0, s[4:5], 0x7c
	s_load_dword s1, s[4:5], 0x0
	s_waitcnt lgkmcnt(0)
	s_and_b32 s0, s0, 0xffff
	s_mul_i32 s6, s6, s0
	v_add_u32_e32 v2, s6, v0
	v_cmp_gt_i32_e32 vcc, s1, v2
	s_and_saveexec_b64 s[0:1], vcc
	s_cbranch_execz .LBB10_14
; %bb.1:
	s_load_dwordx4 s[8:11], s[4:5], 0x8
	s_load_dwordx2 s[16:17], s[4:5], 0x18
	s_load_dwordx4 s[0:3], s[4:5], 0x48
	v_ashrrev_i32_e32 v3, 31, v2
	v_lshlrev_b64 v[4:5], 2, v[2:3]
	s_waitcnt lgkmcnt(0)
	v_mov_b32_e32 v1, s9
	v_add_co_u32_e32 v0, vcc, s8, v4
	v_addc_co_u32_e32 v1, vcc, v1, v5, vcc
	global_load_dwordx2 v[6:7], v[0:1], off
	v_mov_b32_e32 v1, s1
	v_add_co_u32_e32 v0, vcc, s0, v4
	v_addc_co_u32_e32 v1, vcc, v1, v5, vcc
	global_load_dword v13, v[0:1], off
	s_load_dword s26, s[4:5], 0x20
	s_load_dwordx2 s[6:7], s[4:5], 0x58
	s_waitcnt vmcnt(1) lgkmcnt(0)
	v_subrev_u32_e32 v0, s26, v6
	v_subrev_u32_e32 v12, s26, v7
	v_cmp_lt_i32_e32 vcc, v6, v7
	s_and_saveexec_b64 s[8:9], vcc
	s_cbranch_execz .LBB10_11
; %bb.2:
	s_load_dwordx4 s[12:15], s[4:5], 0x28
	s_load_dwordx2 s[18:19], s[4:5], 0x38
	s_load_dword s27, s[4:5], 0x40
	v_mov_b32_e32 v7, s11
	v_mov_b32_e32 v11, s17
	s_waitcnt lgkmcnt(0)
	v_mov_b32_e32 v1, s13
	v_add_co_u32_e32 v4, vcc, s12, v4
	v_addc_co_u32_e32 v5, vcc, v1, v5, vcc
	global_load_dword v10, v[4:5], off
	v_ashrrev_i32_e32 v1, 31, v0
	v_lshlrev_b64 v[4:5], 2, v[0:1]
	v_add_co_u32_e32 v6, vcc, s10, v4
	v_lshlrev_b64 v[8:9], 3, v[0:1]
	v_addc_co_u32_e32 v7, vcc, v7, v5, vcc
	v_add_co_u32_e32 v8, vcc, s16, v8
	v_addc_co_u32_e32 v9, vcc, v11, v9, vcc
	s_mov_b64 s[20:21], 0
                                        ; implicit-def: $sgpr12_sgpr13
                                        ; implicit-def: $sgpr0_sgpr1
                                        ; implicit-def: $sgpr22_sgpr23
	s_waitcnt vmcnt(0)
	v_subrev_u32_e32 v10, s27, v10
	s_branch .LBB10_4
.LBB10_3:                               ;   in Loop: Header=BB10_4 Depth=1
	s_or_b64 exec, exec, s[24:25]
	s_and_b64 s[24:25], exec, s[0:1]
	s_or_b64 s[20:21], s[24:25], s[20:21]
	s_andn2_b64 s[12:13], s[12:13], exec
	s_and_b64 s[24:25], s[22:23], exec
	s_or_b64 s[12:13], s[12:13], s[24:25]
	s_andn2_b64 exec, exec, s[20:21]
	s_cbranch_execz .LBB10_6
.LBB10_4:                               ; =>This Inner Loop Header: Depth=1
	global_load_dword v11, v[6:7], off
	v_pk_mov_b32 v[4:5], v[0:1], v[0:1] op_sel:[0,1]
	s_or_b64 s[22:23], s[22:23], exec
	s_or_b64 s[0:1], s[0:1], exec
                                        ; implicit-def: $vgpr0_vgpr1
	s_waitcnt vmcnt(0)
	v_subrev_u32_e32 v14, s26, v11
	v_cmp_gt_i32_e32 vcc, v2, v14
	s_and_saveexec_b64 s[24:25], vcc
	s_cbranch_execz .LBB10_3
; %bb.5:                                ;   in Loop: Header=BB10_4 Depth=1
	v_ashrrev_i32_e32 v11, 31, v10
	v_lshlrev_b64 v[0:1], 2, v[10:11]
	v_mov_b32_e32 v15, s15
	v_add_co_u32_e32 v0, vcc, s14, v0
	v_addc_co_u32_e32 v1, vcc, v15, v1, vcc
	v_add_u32_e32 v15, s27, v14
	global_store_dword v[0:1], v15, off
	global_load_dwordx2 v[16:17], v[8:9], off
	v_add_co_u32_e32 v0, vcc, 1, v4
	v_addc_co_u32_e32 v1, vcc, 0, v5, vcc
	v_add_co_u32_e32 v6, vcc, 4, v6
	v_lshlrev_b64 v[18:19], 3, v[10:11]
	v_mov_b32_e32 v15, s19
	v_addc_co_u32_e32 v7, vcc, 0, v7, vcc
	s_andn2_b64 s[28:29], s[0:1], exec
	v_add_co_u32_e64 v18, s[0:1], s18, v18
	v_cmp_ge_i32_e32 vcc, v0, v12
	v_addc_co_u32_e64 v19, s[0:1], v15, v19, s[0:1]
	s_and_b64 s[0:1], vcc, exec
	v_add_co_u32_e32 v8, vcc, 8, v8
	s_andn2_b64 s[22:23], s[22:23], exec
	v_add_u32_e32 v10, 1, v10
	v_addc_co_u32_e32 v9, vcc, 0, v9, vcc
	s_or_b64 s[0:1], s[28:29], s[0:1]
	s_waitcnt vmcnt(0)
	global_store_dwordx2 v[18:19], v[16:17], off
	s_branch .LBB10_3
.LBB10_6:
	s_or_b64 exec, exec, s[20:21]
	s_and_saveexec_b64 s[0:1], s[12:13]
	s_xor_b64 s[0:1], exec, s[0:1]
	s_cbranch_execz .LBB10_10
; %bb.7:
	v_cmp_eq_u32_e32 vcc, v14, v2
	s_and_saveexec_b64 s[12:13], vcc
	s_cbranch_execz .LBB10_9
; %bb.8:
	v_lshlrev_b64 v[0:1], 3, v[4:5]
	v_mov_b32_e32 v5, s17
	v_add_co_u32_e32 v0, vcc, s16, v0
	v_addc_co_u32_e32 v1, vcc, v5, v1, vcc
	global_load_dwordx2 v[0:1], v[0:1], off
	s_load_dwordx2 s[14:15], s[4:5], 0x68
	v_lshlrev_b64 v[2:3], 3, v[2:3]
	v_add_u32_e32 v4, 1, v4
	s_waitcnt lgkmcnt(0)
	v_mov_b32_e32 v5, s15
	v_add_co_u32_e32 v2, vcc, s14, v2
	v_addc_co_u32_e32 v3, vcc, v5, v3, vcc
	s_waitcnt vmcnt(0)
	global_store_dwordx2 v[2:3], v[0:1], off
.LBB10_9:
	s_or_b64 exec, exec, s[12:13]
	v_mov_b32_e32 v0, v4
.LBB10_10:
	s_or_b64 exec, exec, s[0:1]
.LBB10_11:
	s_or_b64 exec, exec, s[8:9]
	v_cmp_lt_i32_e32 vcc, v0, v12
	s_and_b64 exec, exec, vcc
	s_cbranch_execz .LBB10_14
; %bb.12:
	s_load_dword s0, s[4:5], 0x60
	v_ashrrev_i32_e32 v1, 31, v0
	v_lshlrev_b64 v[2:3], 2, v[0:1]
	v_mov_b32_e32 v4, s11
	v_add_co_u32_e32 v2, vcc, s10, v2
	v_addc_co_u32_e32 v3, vcc, v4, v3, vcc
	v_lshlrev_b64 v[4:5], 3, v[0:1]
	v_mov_b32_e32 v1, s17
	v_add_co_u32_e32 v4, vcc, s16, v4
	s_waitcnt lgkmcnt(0)
	s_sub_i32 s8, s0, s26
	v_addc_co_u32_e32 v5, vcc, v1, v5, vcc
	s_waitcnt vmcnt(0)
	v_subrev_u32_e32 v6, s0, v13
	s_mov_b64 s[4:5], 0
	v_mov_b32_e32 v1, s3
	v_mov_b32_e32 v8, s7
.LBB10_13:                              ; =>This Inner Loop Header: Depth=1
	global_load_dword v9, v[2:3], off
	v_ashrrev_i32_e32 v7, 31, v6
	v_lshlrev_b64 v[10:11], 2, v[6:7]
	v_add_co_u32_e32 v10, vcc, s2, v10
	v_addc_co_u32_e32 v11, vcc, v1, v11, vcc
	v_add_co_u32_e32 v2, vcc, 4, v2
	v_add_u32_e32 v0, 1, v0
	v_addc_co_u32_e32 v3, vcc, 0, v3, vcc
	v_lshlrev_b64 v[14:15], 3, v[6:7]
	v_cmp_ge_i32_e32 vcc, v0, v12
	v_add_co_u32_e64 v14, s[0:1], s6, v14
	s_or_b64 s[4:5], vcc, s[4:5]
	v_add_u32_e32 v6, 1, v6
	v_addc_co_u32_e64 v15, s[0:1], v8, v15, s[0:1]
	s_waitcnt vmcnt(0)
	v_add_u32_e32 v9, s8, v9
	global_store_dword v[10:11], v9, off
	global_load_dwordx2 v[10:11], v[4:5], off
	v_add_co_u32_e32 v4, vcc, 8, v4
	v_addc_co_u32_e32 v5, vcc, 0, v5, vcc
	s_waitcnt vmcnt(0)
	global_store_dwordx2 v[14:15], v[10:11], off
	s_andn2_b64 exec, exec, s[4:5]
	s_cbranch_execnz .LBB10_13
.LBB10_14:
	s_endpgm
	.section	.rodata,"a",@progbits
	.p2align	6, 0x0
	.amdhsa_kernel _ZN9rocsparseL19csxsldu_fill_kernelILj1024EL20rocsparse_diag_type_1ELS1_1E21rocsparse_complex_numIfEiiEEvT4_PKT3_PKS4_PKT2_21rocsparse_index_base_S7_PS4_PSA_SD_S7_SE_SF_SD_SF_
		.amdhsa_group_segment_fixed_size 0
		.amdhsa_private_segment_fixed_size 0
		.amdhsa_kernarg_size 368
		.amdhsa_user_sgpr_count 6
		.amdhsa_user_sgpr_private_segment_buffer 1
		.amdhsa_user_sgpr_dispatch_ptr 0
		.amdhsa_user_sgpr_queue_ptr 0
		.amdhsa_user_sgpr_kernarg_segment_ptr 1
		.amdhsa_user_sgpr_dispatch_id 0
		.amdhsa_user_sgpr_flat_scratch_init 0
		.amdhsa_user_sgpr_kernarg_preload_length 0
		.amdhsa_user_sgpr_kernarg_preload_offset 0
		.amdhsa_user_sgpr_private_segment_size 0
		.amdhsa_uses_dynamic_stack 0
		.amdhsa_system_sgpr_private_segment_wavefront_offset 0
		.amdhsa_system_sgpr_workgroup_id_x 1
		.amdhsa_system_sgpr_workgroup_id_y 0
		.amdhsa_system_sgpr_workgroup_id_z 0
		.amdhsa_system_sgpr_workgroup_info 0
		.amdhsa_system_vgpr_workitem_id 0
		.amdhsa_next_free_vgpr 20
		.amdhsa_next_free_sgpr 30
		.amdhsa_accum_offset 20
		.amdhsa_reserve_vcc 1
		.amdhsa_reserve_flat_scratch 0
		.amdhsa_float_round_mode_32 0
		.amdhsa_float_round_mode_16_64 0
		.amdhsa_float_denorm_mode_32 3
		.amdhsa_float_denorm_mode_16_64 3
		.amdhsa_dx10_clamp 1
		.amdhsa_ieee_mode 1
		.amdhsa_fp16_overflow 0
		.amdhsa_tg_split 0
		.amdhsa_exception_fp_ieee_invalid_op 0
		.amdhsa_exception_fp_denorm_src 0
		.amdhsa_exception_fp_ieee_div_zero 0
		.amdhsa_exception_fp_ieee_overflow 0
		.amdhsa_exception_fp_ieee_underflow 0
		.amdhsa_exception_fp_ieee_inexact 0
		.amdhsa_exception_int_div_zero 0
	.end_amdhsa_kernel
	.section	.text._ZN9rocsparseL19csxsldu_fill_kernelILj1024EL20rocsparse_diag_type_1ELS1_1E21rocsparse_complex_numIfEiiEEvT4_PKT3_PKS4_PKT2_21rocsparse_index_base_S7_PS4_PSA_SD_S7_SE_SF_SD_SF_,"axG",@progbits,_ZN9rocsparseL19csxsldu_fill_kernelILj1024EL20rocsparse_diag_type_1ELS1_1E21rocsparse_complex_numIfEiiEEvT4_PKT3_PKS4_PKT2_21rocsparse_index_base_S7_PS4_PSA_SD_S7_SE_SF_SD_SF_,comdat
.Lfunc_end10:
	.size	_ZN9rocsparseL19csxsldu_fill_kernelILj1024EL20rocsparse_diag_type_1ELS1_1E21rocsparse_complex_numIfEiiEEvT4_PKT3_PKS4_PKT2_21rocsparse_index_base_S7_PS4_PSA_SD_S7_SE_SF_SD_SF_, .Lfunc_end10-_ZN9rocsparseL19csxsldu_fill_kernelILj1024EL20rocsparse_diag_type_1ELS1_1E21rocsparse_complex_numIfEiiEEvT4_PKT3_PKS4_PKT2_21rocsparse_index_base_S7_PS4_PSA_SD_S7_SE_SF_SD_SF_
                                        ; -- End function
	.section	.AMDGPU.csdata,"",@progbits
; Kernel info:
; codeLenInByte = 832
; NumSgprs: 34
; NumVgprs: 20
; NumAgprs: 0
; TotalNumVgprs: 20
; ScratchSize: 0
; MemoryBound: 0
; FloatMode: 240
; IeeeMode: 1
; LDSByteSize: 0 bytes/workgroup (compile time only)
; SGPRBlocks: 4
; VGPRBlocks: 2
; NumSGPRsForWavesPerEU: 34
; NumVGPRsForWavesPerEU: 20
; AccumOffset: 20
; Occupancy: 8
; WaveLimiterHint : 0
; COMPUTE_PGM_RSRC2:SCRATCH_EN: 0
; COMPUTE_PGM_RSRC2:USER_SGPR: 6
; COMPUTE_PGM_RSRC2:TRAP_HANDLER: 0
; COMPUTE_PGM_RSRC2:TGID_X_EN: 1
; COMPUTE_PGM_RSRC2:TGID_Y_EN: 0
; COMPUTE_PGM_RSRC2:TGID_Z_EN: 0
; COMPUTE_PGM_RSRC2:TIDIG_COMP_CNT: 0
; COMPUTE_PGM_RSRC3_GFX90A:ACCUM_OFFSET: 4
; COMPUTE_PGM_RSRC3_GFX90A:TG_SPLIT: 0
	.section	.text._ZN9rocsparseL19csxsldu_fill_kernelILj1024EL20rocsparse_diag_type_0ELS1_1E21rocsparse_complex_numIfEiiEEvT4_PKT3_PKS4_PKT2_21rocsparse_index_base_S7_PS4_PSA_SD_S7_SE_SF_SD_SF_,"axG",@progbits,_ZN9rocsparseL19csxsldu_fill_kernelILj1024EL20rocsparse_diag_type_0ELS1_1E21rocsparse_complex_numIfEiiEEvT4_PKT3_PKS4_PKT2_21rocsparse_index_base_S7_PS4_PSA_SD_S7_SE_SF_SD_SF_,comdat
	.globl	_ZN9rocsparseL19csxsldu_fill_kernelILj1024EL20rocsparse_diag_type_0ELS1_1E21rocsparse_complex_numIfEiiEEvT4_PKT3_PKS4_PKT2_21rocsparse_index_base_S7_PS4_PSA_SD_S7_SE_SF_SD_SF_ ; -- Begin function _ZN9rocsparseL19csxsldu_fill_kernelILj1024EL20rocsparse_diag_type_0ELS1_1E21rocsparse_complex_numIfEiiEEvT4_PKT3_PKS4_PKT2_21rocsparse_index_base_S7_PS4_PSA_SD_S7_SE_SF_SD_SF_
	.p2align	8
	.type	_ZN9rocsparseL19csxsldu_fill_kernelILj1024EL20rocsparse_diag_type_0ELS1_1E21rocsparse_complex_numIfEiiEEvT4_PKT3_PKS4_PKT2_21rocsparse_index_base_S7_PS4_PSA_SD_S7_SE_SF_SD_SF_,@function
_ZN9rocsparseL19csxsldu_fill_kernelILj1024EL20rocsparse_diag_type_0ELS1_1E21rocsparse_complex_numIfEiiEEvT4_PKT3_PKS4_PKT2_21rocsparse_index_base_S7_PS4_PSA_SD_S7_SE_SF_SD_SF_: ; @_ZN9rocsparseL19csxsldu_fill_kernelILj1024EL20rocsparse_diag_type_0ELS1_1E21rocsparse_complex_numIfEiiEEvT4_PKT3_PKS4_PKT2_21rocsparse_index_base_S7_PS4_PSA_SD_S7_SE_SF_SD_SF_
; %bb.0:
	s_load_dword s0, s[4:5], 0x7c
	s_load_dword s1, s[4:5], 0x0
	s_waitcnt lgkmcnt(0)
	s_and_b32 s0, s0, 0xffff
	s_mul_i32 s6, s6, s0
	v_add_u32_e32 v2, s6, v0
	v_cmp_gt_i32_e32 vcc, s1, v2
	s_and_saveexec_b64 s[0:1], vcc
	s_cbranch_execz .LBB11_10
; %bb.1:
	s_load_dwordx4 s[8:11], s[4:5], 0x8
	s_load_dwordx2 s[16:17], s[4:5], 0x18
	s_load_dwordx4 s[0:3], s[4:5], 0x48
	v_ashrrev_i32_e32 v3, 31, v2
	v_lshlrev_b64 v[4:5], 2, v[2:3]
	s_waitcnt lgkmcnt(0)
	v_mov_b32_e32 v1, s9
	v_add_co_u32_e32 v0, vcc, s8, v4
	v_addc_co_u32_e32 v1, vcc, v1, v5, vcc
	global_load_dwordx2 v[6:7], v[0:1], off
	v_mov_b32_e32 v1, s1
	v_add_co_u32_e32 v0, vcc, s0, v4
	v_addc_co_u32_e32 v1, vcc, v1, v5, vcc
	global_load_dword v11, v[0:1], off
	s_load_dword s22, s[4:5], 0x20
	s_load_dwordx2 s[6:7], s[4:5], 0x58
	s_waitcnt vmcnt(1) lgkmcnt(0)
	v_subrev_u32_e32 v0, s22, v6
	v_subrev_u32_e32 v10, s22, v7
	v_cmp_lt_i32_e32 vcc, v6, v7
	s_and_saveexec_b64 s[8:9], vcc
	s_cbranch_execz .LBB11_7
; %bb.2:
	s_load_dwordx4 s[12:15], s[4:5], 0x28
	s_load_dwordx2 s[18:19], s[4:5], 0x38
	s_load_dword s23, s[4:5], 0x40
	v_mov_b32_e32 v8, s11
	v_mov_b32_e32 v9, s17
	s_waitcnt lgkmcnt(0)
	v_mov_b32_e32 v1, s13
	v_add_co_u32_e32 v4, vcc, s12, v4
	v_addc_co_u32_e32 v5, vcc, v1, v5, vcc
	global_load_dword v3, v[4:5], off
	v_ashrrev_i32_e32 v1, 31, v0
	v_lshlrev_b64 v[4:5], 2, v[0:1]
	v_add_co_u32_e32 v4, vcc, s10, v4
	v_lshlrev_b64 v[6:7], 3, v[0:1]
	v_addc_co_u32_e32 v5, vcc, v8, v5, vcc
	v_add_co_u32_e32 v6, vcc, s16, v6
	v_addc_co_u32_e32 v7, vcc, v9, v7, vcc
	s_mov_b64 s[12:13], 0
                                        ; implicit-def: $sgpr0_sgpr1
	s_waitcnt vmcnt(0)
	v_subrev_u32_e32 v8, s23, v3
	s_branch .LBB11_4
.LBB11_3:                               ;   in Loop: Header=BB11_4 Depth=1
	s_or_b64 exec, exec, s[20:21]
	s_and_b64 s[20:21], exec, s[0:1]
	s_or_b64 s[12:13], s[20:21], s[12:13]
	s_andn2_b64 exec, exec, s[12:13]
	s_cbranch_execz .LBB11_6
.LBB11_4:                               ; =>This Inner Loop Header: Depth=1
	global_load_dword v1, v[4:5], off
	s_or_b64 s[0:1], s[0:1], exec
	s_waitcnt vmcnt(0)
	v_subrev_u32_e32 v1, s22, v1
	v_cmp_ge_i32_e32 vcc, v2, v1
	s_and_saveexec_b64 s[20:21], vcc
	s_cbranch_execz .LBB11_3
; %bb.5:                                ;   in Loop: Header=BB11_4 Depth=1
	v_ashrrev_i32_e32 v9, 31, v8
	v_lshlrev_b64 v[12:13], 2, v[8:9]
	v_mov_b32_e32 v3, s15
	v_add_co_u32_e32 v12, vcc, s14, v12
	v_addc_co_u32_e32 v13, vcc, v3, v13, vcc
	v_add_u32_e32 v1, s23, v1
	global_store_dword v[12:13], v1, off
	global_load_dwordx2 v[12:13], v[6:7], off
	v_add_co_u32_e32 v4, vcc, 4, v4
	v_lshlrev_b64 v[14:15], 3, v[8:9]
	v_mov_b32_e32 v1, s19
	v_add_u32_e32 v0, 1, v0
	v_addc_co_u32_e32 v5, vcc, 0, v5, vcc
	s_andn2_b64 s[24:25], s[0:1], exec
	v_add_co_u32_e64 v14, s[0:1], s18, v14
	v_cmp_ge_i32_e32 vcc, v0, v10
	v_addc_co_u32_e64 v15, s[0:1], v1, v15, s[0:1]
	s_and_b64 s[0:1], vcc, exec
	v_add_co_u32_e32 v6, vcc, 8, v6
	v_add_u32_e32 v8, 1, v8
	v_addc_co_u32_e32 v7, vcc, 0, v7, vcc
	s_or_b64 s[0:1], s[24:25], s[0:1]
	s_waitcnt vmcnt(0)
	global_store_dwordx2 v[14:15], v[12:13], off
	s_branch .LBB11_3
.LBB11_6:
	s_or_b64 exec, exec, s[12:13]
.LBB11_7:
	s_or_b64 exec, exec, s[8:9]
	v_cmp_lt_i32_e32 vcc, v0, v10
	s_and_b64 exec, exec, vcc
	s_cbranch_execz .LBB11_10
; %bb.8:
	s_load_dword s0, s[4:5], 0x60
	v_ashrrev_i32_e32 v1, 31, v0
	v_lshlrev_b64 v[2:3], 2, v[0:1]
	v_mov_b32_e32 v4, s11
	v_add_co_u32_e32 v2, vcc, s10, v2
	v_addc_co_u32_e32 v3, vcc, v4, v3, vcc
	v_lshlrev_b64 v[4:5], 3, v[0:1]
	v_mov_b32_e32 v1, s17
	v_add_co_u32_e32 v4, vcc, s16, v4
	s_waitcnt lgkmcnt(0)
	s_sub_i32 s8, s0, s22
	v_addc_co_u32_e32 v5, vcc, v1, v5, vcc
	s_waitcnt vmcnt(0)
	v_subrev_u32_e32 v6, s0, v11
	s_mov_b64 s[4:5], 0
	v_mov_b32_e32 v1, s3
	v_mov_b32_e32 v8, s7
.LBB11_9:                               ; =>This Inner Loop Header: Depth=1
	global_load_dword v9, v[2:3], off
	v_ashrrev_i32_e32 v7, 31, v6
	v_lshlrev_b64 v[12:13], 2, v[6:7]
	v_add_co_u32_e32 v12, vcc, s2, v12
	v_addc_co_u32_e32 v13, vcc, v1, v13, vcc
	v_add_co_u32_e32 v2, vcc, 4, v2
	v_add_u32_e32 v0, 1, v0
	v_addc_co_u32_e32 v3, vcc, 0, v3, vcc
	v_lshlrev_b64 v[14:15], 3, v[6:7]
	v_cmp_ge_i32_e32 vcc, v0, v10
	v_add_co_u32_e64 v14, s[0:1], s6, v14
	s_or_b64 s[4:5], vcc, s[4:5]
	v_add_u32_e32 v6, 1, v6
	v_addc_co_u32_e64 v15, s[0:1], v8, v15, s[0:1]
	s_waitcnt vmcnt(0)
	v_add_u32_e32 v9, s8, v9
	global_store_dword v[12:13], v9, off
	global_load_dwordx2 v[12:13], v[4:5], off
	v_add_co_u32_e32 v4, vcc, 8, v4
	v_addc_co_u32_e32 v5, vcc, 0, v5, vcc
	s_waitcnt vmcnt(0)
	global_store_dwordx2 v[14:15], v[12:13], off
	s_andn2_b64 exec, exec, s[4:5]
	s_cbranch_execnz .LBB11_9
.LBB11_10:
	s_endpgm
	.section	.rodata,"a",@progbits
	.p2align	6, 0x0
	.amdhsa_kernel _ZN9rocsparseL19csxsldu_fill_kernelILj1024EL20rocsparse_diag_type_0ELS1_1E21rocsparse_complex_numIfEiiEEvT4_PKT3_PKS4_PKT2_21rocsparse_index_base_S7_PS4_PSA_SD_S7_SE_SF_SD_SF_
		.amdhsa_group_segment_fixed_size 0
		.amdhsa_private_segment_fixed_size 0
		.amdhsa_kernarg_size 368
		.amdhsa_user_sgpr_count 6
		.amdhsa_user_sgpr_private_segment_buffer 1
		.amdhsa_user_sgpr_dispatch_ptr 0
		.amdhsa_user_sgpr_queue_ptr 0
		.amdhsa_user_sgpr_kernarg_segment_ptr 1
		.amdhsa_user_sgpr_dispatch_id 0
		.amdhsa_user_sgpr_flat_scratch_init 0
		.amdhsa_user_sgpr_kernarg_preload_length 0
		.amdhsa_user_sgpr_kernarg_preload_offset 0
		.amdhsa_user_sgpr_private_segment_size 0
		.amdhsa_uses_dynamic_stack 0
		.amdhsa_system_sgpr_private_segment_wavefront_offset 0
		.amdhsa_system_sgpr_workgroup_id_x 1
		.amdhsa_system_sgpr_workgroup_id_y 0
		.amdhsa_system_sgpr_workgroup_id_z 0
		.amdhsa_system_sgpr_workgroup_info 0
		.amdhsa_system_vgpr_workitem_id 0
		.amdhsa_next_free_vgpr 16
		.amdhsa_next_free_sgpr 26
		.amdhsa_accum_offset 16
		.amdhsa_reserve_vcc 1
		.amdhsa_reserve_flat_scratch 0
		.amdhsa_float_round_mode_32 0
		.amdhsa_float_round_mode_16_64 0
		.amdhsa_float_denorm_mode_32 3
		.amdhsa_float_denorm_mode_16_64 3
		.amdhsa_dx10_clamp 1
		.amdhsa_ieee_mode 1
		.amdhsa_fp16_overflow 0
		.amdhsa_tg_split 0
		.amdhsa_exception_fp_ieee_invalid_op 0
		.amdhsa_exception_fp_denorm_src 0
		.amdhsa_exception_fp_ieee_div_zero 0
		.amdhsa_exception_fp_ieee_overflow 0
		.amdhsa_exception_fp_ieee_underflow 0
		.amdhsa_exception_fp_ieee_inexact 0
		.amdhsa_exception_int_div_zero 0
	.end_amdhsa_kernel
	.section	.text._ZN9rocsparseL19csxsldu_fill_kernelILj1024EL20rocsparse_diag_type_0ELS1_1E21rocsparse_complex_numIfEiiEEvT4_PKT3_PKS4_PKT2_21rocsparse_index_base_S7_PS4_PSA_SD_S7_SE_SF_SD_SF_,"axG",@progbits,_ZN9rocsparseL19csxsldu_fill_kernelILj1024EL20rocsparse_diag_type_0ELS1_1E21rocsparse_complex_numIfEiiEEvT4_PKT3_PKS4_PKT2_21rocsparse_index_base_S7_PS4_PSA_SD_S7_SE_SF_SD_SF_,comdat
.Lfunc_end11:
	.size	_ZN9rocsparseL19csxsldu_fill_kernelILj1024EL20rocsparse_diag_type_0ELS1_1E21rocsparse_complex_numIfEiiEEvT4_PKT3_PKS4_PKT2_21rocsparse_index_base_S7_PS4_PSA_SD_S7_SE_SF_SD_SF_, .Lfunc_end11-_ZN9rocsparseL19csxsldu_fill_kernelILj1024EL20rocsparse_diag_type_0ELS1_1E21rocsparse_complex_numIfEiiEEvT4_PKT3_PKS4_PKT2_21rocsparse_index_base_S7_PS4_PSA_SD_S7_SE_SF_SD_SF_
                                        ; -- End function
	.section	.AMDGPU.csdata,"",@progbits
; Kernel info:
; codeLenInByte = 688
; NumSgprs: 30
; NumVgprs: 16
; NumAgprs: 0
; TotalNumVgprs: 16
; ScratchSize: 0
; MemoryBound: 0
; FloatMode: 240
; IeeeMode: 1
; LDSByteSize: 0 bytes/workgroup (compile time only)
; SGPRBlocks: 3
; VGPRBlocks: 1
; NumSGPRsForWavesPerEU: 30
; NumVGPRsForWavesPerEU: 16
; AccumOffset: 16
; Occupancy: 8
; WaveLimiterHint : 0
; COMPUTE_PGM_RSRC2:SCRATCH_EN: 0
; COMPUTE_PGM_RSRC2:USER_SGPR: 6
; COMPUTE_PGM_RSRC2:TRAP_HANDLER: 0
; COMPUTE_PGM_RSRC2:TGID_X_EN: 1
; COMPUTE_PGM_RSRC2:TGID_Y_EN: 0
; COMPUTE_PGM_RSRC2:TGID_Z_EN: 0
; COMPUTE_PGM_RSRC2:TIDIG_COMP_CNT: 0
; COMPUTE_PGM_RSRC3_GFX90A:ACCUM_OFFSET: 3
; COMPUTE_PGM_RSRC3_GFX90A:TG_SPLIT: 0
	.section	.text._ZN9rocsparseL19csxsldu_fill_kernelILj1024EL20rocsparse_diag_type_1ELS1_0E21rocsparse_complex_numIdEiiEEvT4_PKT3_PKS4_PKT2_21rocsparse_index_base_S7_PS4_PSA_SD_S7_SE_SF_SD_SF_,"axG",@progbits,_ZN9rocsparseL19csxsldu_fill_kernelILj1024EL20rocsparse_diag_type_1ELS1_0E21rocsparse_complex_numIdEiiEEvT4_PKT3_PKS4_PKT2_21rocsparse_index_base_S7_PS4_PSA_SD_S7_SE_SF_SD_SF_,comdat
	.globl	_ZN9rocsparseL19csxsldu_fill_kernelILj1024EL20rocsparse_diag_type_1ELS1_0E21rocsparse_complex_numIdEiiEEvT4_PKT3_PKS4_PKT2_21rocsparse_index_base_S7_PS4_PSA_SD_S7_SE_SF_SD_SF_ ; -- Begin function _ZN9rocsparseL19csxsldu_fill_kernelILj1024EL20rocsparse_diag_type_1ELS1_0E21rocsparse_complex_numIdEiiEEvT4_PKT3_PKS4_PKT2_21rocsparse_index_base_S7_PS4_PSA_SD_S7_SE_SF_SD_SF_
	.p2align	8
	.type	_ZN9rocsparseL19csxsldu_fill_kernelILj1024EL20rocsparse_diag_type_1ELS1_0E21rocsparse_complex_numIdEiiEEvT4_PKT3_PKS4_PKT2_21rocsparse_index_base_S7_PS4_PSA_SD_S7_SE_SF_SD_SF_,@function
_ZN9rocsparseL19csxsldu_fill_kernelILj1024EL20rocsparse_diag_type_1ELS1_0E21rocsparse_complex_numIdEiiEEvT4_PKT3_PKS4_PKT2_21rocsparse_index_base_S7_PS4_PSA_SD_S7_SE_SF_SD_SF_: ; @_ZN9rocsparseL19csxsldu_fill_kernelILj1024EL20rocsparse_diag_type_1ELS1_0E21rocsparse_complex_numIdEiiEEvT4_PKT3_PKS4_PKT2_21rocsparse_index_base_S7_PS4_PSA_SD_S7_SE_SF_SD_SF_
; %bb.0:
	s_load_dword s0, s[4:5], 0x7c
	s_load_dword s1, s[4:5], 0x0
	s_waitcnt lgkmcnt(0)
	s_and_b32 s0, s0, 0xffff
	s_mul_i32 s6, s6, s0
	v_add_u32_e32 v2, s6, v0
	v_cmp_gt_i32_e32 vcc, s1, v2
	s_and_saveexec_b64 s[0:1], vcc
	s_cbranch_execz .LBB12_10
; %bb.1:
	s_load_dwordx4 s[8:11], s[4:5], 0x8
	s_load_dwordx2 s[16:17], s[4:5], 0x18
	s_load_dwordx4 s[0:3], s[4:5], 0x48
	v_ashrrev_i32_e32 v3, 31, v2
	v_lshlrev_b64 v[4:5], 2, v[2:3]
	s_waitcnt lgkmcnt(0)
	v_mov_b32_e32 v1, s9
	v_add_co_u32_e32 v0, vcc, s8, v4
	v_addc_co_u32_e32 v1, vcc, v1, v5, vcc
	global_load_dwordx2 v[6:7], v[0:1], off
	v_mov_b32_e32 v1, s1
	v_add_co_u32_e32 v0, vcc, s0, v4
	v_addc_co_u32_e32 v1, vcc, v1, v5, vcc
	global_load_dword v11, v[0:1], off
	s_load_dword s22, s[4:5], 0x20
	s_load_dwordx2 s[6:7], s[4:5], 0x58
	s_waitcnt vmcnt(1) lgkmcnt(0)
	v_subrev_u32_e32 v0, s22, v6
	v_subrev_u32_e32 v10, s22, v7
	v_cmp_lt_i32_e32 vcc, v6, v7
	s_and_saveexec_b64 s[8:9], vcc
	s_cbranch_execz .LBB12_7
; %bb.2:
	s_load_dwordx4 s[12:15], s[4:5], 0x28
	s_load_dwordx2 s[18:19], s[4:5], 0x38
	s_load_dword s23, s[4:5], 0x40
	v_mov_b32_e32 v8, s11
	v_mov_b32_e32 v9, s17
	s_waitcnt lgkmcnt(0)
	v_mov_b32_e32 v1, s13
	v_add_co_u32_e32 v4, vcc, s12, v4
	v_addc_co_u32_e32 v5, vcc, v1, v5, vcc
	global_load_dword v3, v[4:5], off
	v_ashrrev_i32_e32 v1, 31, v0
	v_lshlrev_b64 v[4:5], 2, v[0:1]
	v_add_co_u32_e32 v4, vcc, s10, v4
	v_lshlrev_b64 v[6:7], 4, v[0:1]
	v_addc_co_u32_e32 v5, vcc, v8, v5, vcc
	v_add_co_u32_e32 v6, vcc, s16, v6
	v_addc_co_u32_e32 v7, vcc, v9, v7, vcc
	s_mov_b64 s[12:13], 0
                                        ; implicit-def: $sgpr0_sgpr1
	s_waitcnt vmcnt(0)
	v_subrev_u32_e32 v8, s23, v3
	s_branch .LBB12_4
.LBB12_3:                               ;   in Loop: Header=BB12_4 Depth=1
	s_or_b64 exec, exec, s[20:21]
	s_and_b64 s[20:21], exec, s[0:1]
	s_or_b64 s[12:13], s[20:21], s[12:13]
	s_andn2_b64 exec, exec, s[12:13]
	s_cbranch_execz .LBB12_6
.LBB12_4:                               ; =>This Inner Loop Header: Depth=1
	global_load_dword v1, v[4:5], off
	s_or_b64 s[0:1], s[0:1], exec
	s_waitcnt vmcnt(0)
	v_subrev_u32_e32 v1, s22, v1
	v_cmp_gt_i32_e32 vcc, v2, v1
	s_and_saveexec_b64 s[20:21], vcc
	s_cbranch_execz .LBB12_3
; %bb.5:                                ;   in Loop: Header=BB12_4 Depth=1
	v_ashrrev_i32_e32 v9, 31, v8
	v_lshlrev_b64 v[12:13], 2, v[8:9]
	v_mov_b32_e32 v3, s15
	v_add_co_u32_e32 v12, vcc, s14, v12
	v_addc_co_u32_e32 v13, vcc, v3, v13, vcc
	v_add_u32_e32 v1, s23, v1
	global_store_dword v[12:13], v1, off
	global_load_dwordx4 v[12:15], v[6:7], off
	v_add_co_u32_e32 v4, vcc, 4, v4
	v_lshlrev_b64 v[16:17], 4, v[8:9]
	v_mov_b32_e32 v1, s19
	v_add_u32_e32 v0, 1, v0
	v_addc_co_u32_e32 v5, vcc, 0, v5, vcc
	s_andn2_b64 s[24:25], s[0:1], exec
	v_add_co_u32_e64 v16, s[0:1], s18, v16
	v_cmp_ge_i32_e32 vcc, v0, v10
	v_addc_co_u32_e64 v17, s[0:1], v1, v17, s[0:1]
	s_and_b64 s[0:1], vcc, exec
	v_add_co_u32_e32 v6, vcc, 16, v6
	v_add_u32_e32 v8, 1, v8
	v_addc_co_u32_e32 v7, vcc, 0, v7, vcc
	s_or_b64 s[0:1], s[24:25], s[0:1]
	s_waitcnt vmcnt(0)
	global_store_dwordx4 v[16:17], v[12:15], off
	s_branch .LBB12_3
.LBB12_6:
	s_or_b64 exec, exec, s[12:13]
.LBB12_7:
	s_or_b64 exec, exec, s[8:9]
	v_cmp_lt_i32_e32 vcc, v0, v10
	s_and_b64 exec, exec, vcc
	s_cbranch_execz .LBB12_10
; %bb.8:
	s_load_dword s0, s[4:5], 0x60
	v_ashrrev_i32_e32 v1, 31, v0
	v_lshlrev_b64 v[2:3], 2, v[0:1]
	v_mov_b32_e32 v4, s11
	v_add_co_u32_e32 v2, vcc, s10, v2
	v_addc_co_u32_e32 v3, vcc, v4, v3, vcc
	v_lshlrev_b64 v[4:5], 4, v[0:1]
	v_mov_b32_e32 v1, s17
	v_add_co_u32_e32 v4, vcc, s16, v4
	s_waitcnt lgkmcnt(0)
	s_sub_i32 s8, s0, s22
	v_addc_co_u32_e32 v5, vcc, v1, v5, vcc
	s_waitcnt vmcnt(0)
	v_subrev_u32_e32 v6, s0, v11
	s_mov_b64 s[4:5], 0
	v_mov_b32_e32 v1, s3
	v_mov_b32_e32 v8, s7
.LBB12_9:                               ; =>This Inner Loop Header: Depth=1
	global_load_dword v9, v[2:3], off
	v_ashrrev_i32_e32 v7, 31, v6
	v_lshlrev_b64 v[12:13], 2, v[6:7]
	v_add_co_u32_e32 v12, vcc, s2, v12
	v_addc_co_u32_e32 v13, vcc, v1, v13, vcc
	v_add_co_u32_e32 v2, vcc, 4, v2
	v_add_u32_e32 v0, 1, v0
	v_addc_co_u32_e32 v3, vcc, 0, v3, vcc
	v_lshlrev_b64 v[16:17], 4, v[6:7]
	v_cmp_ge_i32_e32 vcc, v0, v10
	v_add_co_u32_e64 v16, s[0:1], s6, v16
	s_or_b64 s[4:5], vcc, s[4:5]
	v_add_u32_e32 v6, 1, v6
	v_addc_co_u32_e64 v17, s[0:1], v8, v17, s[0:1]
	s_waitcnt vmcnt(0)
	v_add_u32_e32 v9, s8, v9
	global_store_dword v[12:13], v9, off
	global_load_dwordx4 v[12:15], v[4:5], off
	v_add_co_u32_e32 v4, vcc, 16, v4
	v_addc_co_u32_e32 v5, vcc, 0, v5, vcc
	s_waitcnt vmcnt(0)
	global_store_dwordx4 v[16:17], v[12:15], off
	s_andn2_b64 exec, exec, s[4:5]
	s_cbranch_execnz .LBB12_9
.LBB12_10:
	s_endpgm
	.section	.rodata,"a",@progbits
	.p2align	6, 0x0
	.amdhsa_kernel _ZN9rocsparseL19csxsldu_fill_kernelILj1024EL20rocsparse_diag_type_1ELS1_0E21rocsparse_complex_numIdEiiEEvT4_PKT3_PKS4_PKT2_21rocsparse_index_base_S7_PS4_PSA_SD_S7_SE_SF_SD_SF_
		.amdhsa_group_segment_fixed_size 0
		.amdhsa_private_segment_fixed_size 0
		.amdhsa_kernarg_size 368
		.amdhsa_user_sgpr_count 6
		.amdhsa_user_sgpr_private_segment_buffer 1
		.amdhsa_user_sgpr_dispatch_ptr 0
		.amdhsa_user_sgpr_queue_ptr 0
		.amdhsa_user_sgpr_kernarg_segment_ptr 1
		.amdhsa_user_sgpr_dispatch_id 0
		.amdhsa_user_sgpr_flat_scratch_init 0
		.amdhsa_user_sgpr_kernarg_preload_length 0
		.amdhsa_user_sgpr_kernarg_preload_offset 0
		.amdhsa_user_sgpr_private_segment_size 0
		.amdhsa_uses_dynamic_stack 0
		.amdhsa_system_sgpr_private_segment_wavefront_offset 0
		.amdhsa_system_sgpr_workgroup_id_x 1
		.amdhsa_system_sgpr_workgroup_id_y 0
		.amdhsa_system_sgpr_workgroup_id_z 0
		.amdhsa_system_sgpr_workgroup_info 0
		.amdhsa_system_vgpr_workitem_id 0
		.amdhsa_next_free_vgpr 18
		.amdhsa_next_free_sgpr 26
		.amdhsa_accum_offset 20
		.amdhsa_reserve_vcc 1
		.amdhsa_reserve_flat_scratch 0
		.amdhsa_float_round_mode_32 0
		.amdhsa_float_round_mode_16_64 0
		.amdhsa_float_denorm_mode_32 3
		.amdhsa_float_denorm_mode_16_64 3
		.amdhsa_dx10_clamp 1
		.amdhsa_ieee_mode 1
		.amdhsa_fp16_overflow 0
		.amdhsa_tg_split 0
		.amdhsa_exception_fp_ieee_invalid_op 0
		.amdhsa_exception_fp_denorm_src 0
		.amdhsa_exception_fp_ieee_div_zero 0
		.amdhsa_exception_fp_ieee_overflow 0
		.amdhsa_exception_fp_ieee_underflow 0
		.amdhsa_exception_fp_ieee_inexact 0
		.amdhsa_exception_int_div_zero 0
	.end_amdhsa_kernel
	.section	.text._ZN9rocsparseL19csxsldu_fill_kernelILj1024EL20rocsparse_diag_type_1ELS1_0E21rocsparse_complex_numIdEiiEEvT4_PKT3_PKS4_PKT2_21rocsparse_index_base_S7_PS4_PSA_SD_S7_SE_SF_SD_SF_,"axG",@progbits,_ZN9rocsparseL19csxsldu_fill_kernelILj1024EL20rocsparse_diag_type_1ELS1_0E21rocsparse_complex_numIdEiiEEvT4_PKT3_PKS4_PKT2_21rocsparse_index_base_S7_PS4_PSA_SD_S7_SE_SF_SD_SF_,comdat
.Lfunc_end12:
	.size	_ZN9rocsparseL19csxsldu_fill_kernelILj1024EL20rocsparse_diag_type_1ELS1_0E21rocsparse_complex_numIdEiiEEvT4_PKT3_PKS4_PKT2_21rocsparse_index_base_S7_PS4_PSA_SD_S7_SE_SF_SD_SF_, .Lfunc_end12-_ZN9rocsparseL19csxsldu_fill_kernelILj1024EL20rocsparse_diag_type_1ELS1_0E21rocsparse_complex_numIdEiiEEvT4_PKT3_PKS4_PKT2_21rocsparse_index_base_S7_PS4_PSA_SD_S7_SE_SF_SD_SF_
                                        ; -- End function
	.section	.AMDGPU.csdata,"",@progbits
; Kernel info:
; codeLenInByte = 688
; NumSgprs: 30
; NumVgprs: 18
; NumAgprs: 0
; TotalNumVgprs: 18
; ScratchSize: 0
; MemoryBound: 0
; FloatMode: 240
; IeeeMode: 1
; LDSByteSize: 0 bytes/workgroup (compile time only)
; SGPRBlocks: 3
; VGPRBlocks: 2
; NumSGPRsForWavesPerEU: 30
; NumVGPRsForWavesPerEU: 18
; AccumOffset: 20
; Occupancy: 8
; WaveLimiterHint : 0
; COMPUTE_PGM_RSRC2:SCRATCH_EN: 0
; COMPUTE_PGM_RSRC2:USER_SGPR: 6
; COMPUTE_PGM_RSRC2:TRAP_HANDLER: 0
; COMPUTE_PGM_RSRC2:TGID_X_EN: 1
; COMPUTE_PGM_RSRC2:TGID_Y_EN: 0
; COMPUTE_PGM_RSRC2:TGID_Z_EN: 0
; COMPUTE_PGM_RSRC2:TIDIG_COMP_CNT: 0
; COMPUTE_PGM_RSRC3_GFX90A:ACCUM_OFFSET: 4
; COMPUTE_PGM_RSRC3_GFX90A:TG_SPLIT: 0
	.section	.text._ZN9rocsparseL19csxsldu_fill_kernelILj1024EL20rocsparse_diag_type_1ELS1_1E21rocsparse_complex_numIdEiiEEvT4_PKT3_PKS4_PKT2_21rocsparse_index_base_S7_PS4_PSA_SD_S7_SE_SF_SD_SF_,"axG",@progbits,_ZN9rocsparseL19csxsldu_fill_kernelILj1024EL20rocsparse_diag_type_1ELS1_1E21rocsparse_complex_numIdEiiEEvT4_PKT3_PKS4_PKT2_21rocsparse_index_base_S7_PS4_PSA_SD_S7_SE_SF_SD_SF_,comdat
	.globl	_ZN9rocsparseL19csxsldu_fill_kernelILj1024EL20rocsparse_diag_type_1ELS1_1E21rocsparse_complex_numIdEiiEEvT4_PKT3_PKS4_PKT2_21rocsparse_index_base_S7_PS4_PSA_SD_S7_SE_SF_SD_SF_ ; -- Begin function _ZN9rocsparseL19csxsldu_fill_kernelILj1024EL20rocsparse_diag_type_1ELS1_1E21rocsparse_complex_numIdEiiEEvT4_PKT3_PKS4_PKT2_21rocsparse_index_base_S7_PS4_PSA_SD_S7_SE_SF_SD_SF_
	.p2align	8
	.type	_ZN9rocsparseL19csxsldu_fill_kernelILj1024EL20rocsparse_diag_type_1ELS1_1E21rocsparse_complex_numIdEiiEEvT4_PKT3_PKS4_PKT2_21rocsparse_index_base_S7_PS4_PSA_SD_S7_SE_SF_SD_SF_,@function
_ZN9rocsparseL19csxsldu_fill_kernelILj1024EL20rocsparse_diag_type_1ELS1_1E21rocsparse_complex_numIdEiiEEvT4_PKT3_PKS4_PKT2_21rocsparse_index_base_S7_PS4_PSA_SD_S7_SE_SF_SD_SF_: ; @_ZN9rocsparseL19csxsldu_fill_kernelILj1024EL20rocsparse_diag_type_1ELS1_1E21rocsparse_complex_numIdEiiEEvT4_PKT3_PKS4_PKT2_21rocsparse_index_base_S7_PS4_PSA_SD_S7_SE_SF_SD_SF_
; %bb.0:
	s_load_dword s0, s[4:5], 0x7c
	s_load_dword s1, s[4:5], 0x0
	s_waitcnt lgkmcnt(0)
	s_and_b32 s0, s0, 0xffff
	s_mul_i32 s6, s6, s0
	v_add_u32_e32 v2, s6, v0
	v_cmp_gt_i32_e32 vcc, s1, v2
	s_and_saveexec_b64 s[0:1], vcc
	s_cbranch_execz .LBB13_14
; %bb.1:
	s_load_dwordx4 s[8:11], s[4:5], 0x8
	s_load_dwordx2 s[16:17], s[4:5], 0x18
	s_load_dwordx4 s[0:3], s[4:5], 0x48
	v_ashrrev_i32_e32 v3, 31, v2
	v_lshlrev_b64 v[4:5], 2, v[2:3]
	s_waitcnt lgkmcnt(0)
	v_mov_b32_e32 v1, s9
	v_add_co_u32_e32 v0, vcc, s8, v4
	v_addc_co_u32_e32 v1, vcc, v1, v5, vcc
	global_load_dwordx2 v[6:7], v[0:1], off
	v_mov_b32_e32 v1, s1
	v_add_co_u32_e32 v0, vcc, s0, v4
	v_addc_co_u32_e32 v1, vcc, v1, v5, vcc
	global_load_dword v13, v[0:1], off
	s_load_dword s26, s[4:5], 0x20
	s_load_dwordx2 s[6:7], s[4:5], 0x58
	s_waitcnt vmcnt(1) lgkmcnt(0)
	v_subrev_u32_e32 v0, s26, v6
	v_subrev_u32_e32 v12, s26, v7
	v_cmp_lt_i32_e32 vcc, v6, v7
	s_and_saveexec_b64 s[8:9], vcc
	s_cbranch_execz .LBB13_11
; %bb.2:
	s_load_dwordx4 s[12:15], s[4:5], 0x28
	s_load_dwordx2 s[18:19], s[4:5], 0x38
	s_load_dword s27, s[4:5], 0x40
	v_mov_b32_e32 v7, s11
	v_mov_b32_e32 v11, s17
	s_waitcnt lgkmcnt(0)
	v_mov_b32_e32 v1, s13
	v_add_co_u32_e32 v4, vcc, s12, v4
	v_addc_co_u32_e32 v5, vcc, v1, v5, vcc
	global_load_dword v10, v[4:5], off
	v_ashrrev_i32_e32 v1, 31, v0
	v_lshlrev_b64 v[4:5], 2, v[0:1]
	v_add_co_u32_e32 v6, vcc, s10, v4
	v_lshlrev_b64 v[8:9], 4, v[0:1]
	v_addc_co_u32_e32 v7, vcc, v7, v5, vcc
	v_add_co_u32_e32 v8, vcc, s16, v8
	v_addc_co_u32_e32 v9, vcc, v11, v9, vcc
	s_mov_b64 s[20:21], 0
                                        ; implicit-def: $sgpr12_sgpr13
                                        ; implicit-def: $sgpr0_sgpr1
                                        ; implicit-def: $sgpr22_sgpr23
	s_waitcnt vmcnt(0)
	v_subrev_u32_e32 v10, s27, v10
	s_branch .LBB13_4
.LBB13_3:                               ;   in Loop: Header=BB13_4 Depth=1
	s_or_b64 exec, exec, s[24:25]
	s_and_b64 s[24:25], exec, s[0:1]
	s_or_b64 s[20:21], s[24:25], s[20:21]
	s_andn2_b64 s[12:13], s[12:13], exec
	s_and_b64 s[24:25], s[22:23], exec
	s_or_b64 s[12:13], s[12:13], s[24:25]
	s_andn2_b64 exec, exec, s[20:21]
	s_cbranch_execz .LBB13_6
.LBB13_4:                               ; =>This Inner Loop Header: Depth=1
	global_load_dword v11, v[6:7], off
	v_pk_mov_b32 v[4:5], v[0:1], v[0:1] op_sel:[0,1]
	s_or_b64 s[22:23], s[22:23], exec
	s_or_b64 s[0:1], s[0:1], exec
                                        ; implicit-def: $vgpr0_vgpr1
	s_waitcnt vmcnt(0)
	v_subrev_u32_e32 v14, s26, v11
	v_cmp_gt_i32_e32 vcc, v2, v14
	s_and_saveexec_b64 s[24:25], vcc
	s_cbranch_execz .LBB13_3
; %bb.5:                                ;   in Loop: Header=BB13_4 Depth=1
	v_ashrrev_i32_e32 v11, 31, v10
	v_lshlrev_b64 v[0:1], 2, v[10:11]
	v_mov_b32_e32 v15, s15
	v_add_co_u32_e32 v0, vcc, s14, v0
	v_addc_co_u32_e32 v1, vcc, v15, v1, vcc
	v_add_u32_e32 v15, s27, v14
	global_store_dword v[0:1], v15, off
	global_load_dwordx4 v[16:19], v[8:9], off
	v_add_co_u32_e32 v0, vcc, 1, v4
	v_addc_co_u32_e32 v1, vcc, 0, v5, vcc
	v_add_co_u32_e32 v6, vcc, 4, v6
	v_lshlrev_b64 v[20:21], 4, v[10:11]
	v_mov_b32_e32 v15, s19
	v_addc_co_u32_e32 v7, vcc, 0, v7, vcc
	s_andn2_b64 s[28:29], s[0:1], exec
	v_add_co_u32_e64 v20, s[0:1], s18, v20
	v_cmp_ge_i32_e32 vcc, v0, v12
	v_addc_co_u32_e64 v21, s[0:1], v15, v21, s[0:1]
	s_and_b64 s[0:1], vcc, exec
	v_add_co_u32_e32 v8, vcc, 16, v8
	s_andn2_b64 s[22:23], s[22:23], exec
	v_add_u32_e32 v10, 1, v10
	v_addc_co_u32_e32 v9, vcc, 0, v9, vcc
	s_or_b64 s[0:1], s[28:29], s[0:1]
	s_waitcnt vmcnt(0)
	global_store_dwordx4 v[20:21], v[16:19], off
	s_branch .LBB13_3
.LBB13_6:
	s_or_b64 exec, exec, s[20:21]
	s_and_saveexec_b64 s[0:1], s[12:13]
	s_xor_b64 s[0:1], exec, s[0:1]
	s_cbranch_execz .LBB13_10
; %bb.7:
	v_cmp_eq_u32_e32 vcc, v14, v2
	s_and_saveexec_b64 s[12:13], vcc
	s_cbranch_execz .LBB13_9
; %bb.8:
	v_lshlrev_b64 v[0:1], 4, v[4:5]
	v_mov_b32_e32 v5, s17
	v_add_co_u32_e32 v0, vcc, s16, v0
	v_addc_co_u32_e32 v1, vcc, v5, v1, vcc
	global_load_dwordx4 v[6:9], v[0:1], off
	s_load_dwordx2 s[14:15], s[4:5], 0x68
	v_lshlrev_b64 v[0:1], 4, v[2:3]
	v_add_u32_e32 v4, 1, v4
	s_waitcnt lgkmcnt(0)
	v_mov_b32_e32 v2, s15
	v_add_co_u32_e32 v0, vcc, s14, v0
	v_addc_co_u32_e32 v1, vcc, v2, v1, vcc
	s_waitcnt vmcnt(0)
	global_store_dwordx4 v[0:1], v[6:9], off
.LBB13_9:
	s_or_b64 exec, exec, s[12:13]
	v_mov_b32_e32 v0, v4
.LBB13_10:
	s_or_b64 exec, exec, s[0:1]
.LBB13_11:
	s_or_b64 exec, exec, s[8:9]
	v_cmp_lt_i32_e32 vcc, v0, v12
	s_and_b64 exec, exec, vcc
	s_cbranch_execz .LBB13_14
; %bb.12:
	s_load_dword s0, s[4:5], 0x60
	v_ashrrev_i32_e32 v1, 31, v0
	v_lshlrev_b64 v[2:3], 2, v[0:1]
	v_mov_b32_e32 v4, s11
	v_add_co_u32_e32 v2, vcc, s10, v2
	v_addc_co_u32_e32 v3, vcc, v4, v3, vcc
	v_lshlrev_b64 v[4:5], 4, v[0:1]
	v_mov_b32_e32 v1, s17
	v_add_co_u32_e32 v4, vcc, s16, v4
	s_waitcnt lgkmcnt(0)
	s_sub_i32 s8, s0, s26
	v_addc_co_u32_e32 v5, vcc, v1, v5, vcc
	s_waitcnt vmcnt(0)
	v_subrev_u32_e32 v6, s0, v13
	s_mov_b64 s[4:5], 0
	v_mov_b32_e32 v1, s3
	v_mov_b32_e32 v8, s7
.LBB13_13:                              ; =>This Inner Loop Header: Depth=1
	global_load_dword v9, v[2:3], off
	v_ashrrev_i32_e32 v7, 31, v6
	v_lshlrev_b64 v[10:11], 2, v[6:7]
	v_add_co_u32_e32 v10, vcc, s2, v10
	v_addc_co_u32_e32 v11, vcc, v1, v11, vcc
	v_add_co_u32_e32 v2, vcc, 4, v2
	v_add_u32_e32 v0, 1, v0
	v_addc_co_u32_e32 v3, vcc, 0, v3, vcc
	v_cmp_ge_i32_e32 vcc, v0, v12
	s_or_b64 s[4:5], vcc, s[4:5]
	s_waitcnt vmcnt(0)
	v_add_u32_e32 v9, s8, v9
	global_store_dword v[10:11], v9, off
	global_load_dwordx4 v[14:17], v[4:5], off
	v_lshlrev_b64 v[10:11], 4, v[6:7]
	v_add_co_u32_e64 v10, s[0:1], s6, v10
	v_add_co_u32_e32 v4, vcc, 16, v4
	v_add_u32_e32 v6, 1, v6
	v_addc_co_u32_e64 v11, s[0:1], v8, v11, s[0:1]
	v_addc_co_u32_e32 v5, vcc, 0, v5, vcc
	s_waitcnt vmcnt(0)
	global_store_dwordx4 v[10:11], v[14:17], off
	s_andn2_b64 exec, exec, s[4:5]
	s_cbranch_execnz .LBB13_13
.LBB13_14:
	s_endpgm
	.section	.rodata,"a",@progbits
	.p2align	6, 0x0
	.amdhsa_kernel _ZN9rocsparseL19csxsldu_fill_kernelILj1024EL20rocsparse_diag_type_1ELS1_1E21rocsparse_complex_numIdEiiEEvT4_PKT3_PKS4_PKT2_21rocsparse_index_base_S7_PS4_PSA_SD_S7_SE_SF_SD_SF_
		.amdhsa_group_segment_fixed_size 0
		.amdhsa_private_segment_fixed_size 0
		.amdhsa_kernarg_size 368
		.amdhsa_user_sgpr_count 6
		.amdhsa_user_sgpr_private_segment_buffer 1
		.amdhsa_user_sgpr_dispatch_ptr 0
		.amdhsa_user_sgpr_queue_ptr 0
		.amdhsa_user_sgpr_kernarg_segment_ptr 1
		.amdhsa_user_sgpr_dispatch_id 0
		.amdhsa_user_sgpr_flat_scratch_init 0
		.amdhsa_user_sgpr_kernarg_preload_length 0
		.amdhsa_user_sgpr_kernarg_preload_offset 0
		.amdhsa_user_sgpr_private_segment_size 0
		.amdhsa_uses_dynamic_stack 0
		.amdhsa_system_sgpr_private_segment_wavefront_offset 0
		.amdhsa_system_sgpr_workgroup_id_x 1
		.amdhsa_system_sgpr_workgroup_id_y 0
		.amdhsa_system_sgpr_workgroup_id_z 0
		.amdhsa_system_sgpr_workgroup_info 0
		.amdhsa_system_vgpr_workitem_id 0
		.amdhsa_next_free_vgpr 22
		.amdhsa_next_free_sgpr 30
		.amdhsa_accum_offset 24
		.amdhsa_reserve_vcc 1
		.amdhsa_reserve_flat_scratch 0
		.amdhsa_float_round_mode_32 0
		.amdhsa_float_round_mode_16_64 0
		.amdhsa_float_denorm_mode_32 3
		.amdhsa_float_denorm_mode_16_64 3
		.amdhsa_dx10_clamp 1
		.amdhsa_ieee_mode 1
		.amdhsa_fp16_overflow 0
		.amdhsa_tg_split 0
		.amdhsa_exception_fp_ieee_invalid_op 0
		.amdhsa_exception_fp_denorm_src 0
		.amdhsa_exception_fp_ieee_div_zero 0
		.amdhsa_exception_fp_ieee_overflow 0
		.amdhsa_exception_fp_ieee_underflow 0
		.amdhsa_exception_fp_ieee_inexact 0
		.amdhsa_exception_int_div_zero 0
	.end_amdhsa_kernel
	.section	.text._ZN9rocsparseL19csxsldu_fill_kernelILj1024EL20rocsparse_diag_type_1ELS1_1E21rocsparse_complex_numIdEiiEEvT4_PKT3_PKS4_PKT2_21rocsparse_index_base_S7_PS4_PSA_SD_S7_SE_SF_SD_SF_,"axG",@progbits,_ZN9rocsparseL19csxsldu_fill_kernelILj1024EL20rocsparse_diag_type_1ELS1_1E21rocsparse_complex_numIdEiiEEvT4_PKT3_PKS4_PKT2_21rocsparse_index_base_S7_PS4_PSA_SD_S7_SE_SF_SD_SF_,comdat
.Lfunc_end13:
	.size	_ZN9rocsparseL19csxsldu_fill_kernelILj1024EL20rocsparse_diag_type_1ELS1_1E21rocsparse_complex_numIdEiiEEvT4_PKT3_PKS4_PKT2_21rocsparse_index_base_S7_PS4_PSA_SD_S7_SE_SF_SD_SF_, .Lfunc_end13-_ZN9rocsparseL19csxsldu_fill_kernelILj1024EL20rocsparse_diag_type_1ELS1_1E21rocsparse_complex_numIdEiiEEvT4_PKT3_PKS4_PKT2_21rocsparse_index_base_S7_PS4_PSA_SD_S7_SE_SF_SD_SF_
                                        ; -- End function
	.section	.AMDGPU.csdata,"",@progbits
; Kernel info:
; codeLenInByte = 832
; NumSgprs: 34
; NumVgprs: 22
; NumAgprs: 0
; TotalNumVgprs: 22
; ScratchSize: 0
; MemoryBound: 0
; FloatMode: 240
; IeeeMode: 1
; LDSByteSize: 0 bytes/workgroup (compile time only)
; SGPRBlocks: 4
; VGPRBlocks: 2
; NumSGPRsForWavesPerEU: 34
; NumVGPRsForWavesPerEU: 22
; AccumOffset: 24
; Occupancy: 8
; WaveLimiterHint : 0
; COMPUTE_PGM_RSRC2:SCRATCH_EN: 0
; COMPUTE_PGM_RSRC2:USER_SGPR: 6
; COMPUTE_PGM_RSRC2:TRAP_HANDLER: 0
; COMPUTE_PGM_RSRC2:TGID_X_EN: 1
; COMPUTE_PGM_RSRC2:TGID_Y_EN: 0
; COMPUTE_PGM_RSRC2:TGID_Z_EN: 0
; COMPUTE_PGM_RSRC2:TIDIG_COMP_CNT: 0
; COMPUTE_PGM_RSRC3_GFX90A:ACCUM_OFFSET: 5
; COMPUTE_PGM_RSRC3_GFX90A:TG_SPLIT: 0
	.section	.text._ZN9rocsparseL19csxsldu_fill_kernelILj1024EL20rocsparse_diag_type_0ELS1_1E21rocsparse_complex_numIdEiiEEvT4_PKT3_PKS4_PKT2_21rocsparse_index_base_S7_PS4_PSA_SD_S7_SE_SF_SD_SF_,"axG",@progbits,_ZN9rocsparseL19csxsldu_fill_kernelILj1024EL20rocsparse_diag_type_0ELS1_1E21rocsparse_complex_numIdEiiEEvT4_PKT3_PKS4_PKT2_21rocsparse_index_base_S7_PS4_PSA_SD_S7_SE_SF_SD_SF_,comdat
	.globl	_ZN9rocsparseL19csxsldu_fill_kernelILj1024EL20rocsparse_diag_type_0ELS1_1E21rocsparse_complex_numIdEiiEEvT4_PKT3_PKS4_PKT2_21rocsparse_index_base_S7_PS4_PSA_SD_S7_SE_SF_SD_SF_ ; -- Begin function _ZN9rocsparseL19csxsldu_fill_kernelILj1024EL20rocsparse_diag_type_0ELS1_1E21rocsparse_complex_numIdEiiEEvT4_PKT3_PKS4_PKT2_21rocsparse_index_base_S7_PS4_PSA_SD_S7_SE_SF_SD_SF_
	.p2align	8
	.type	_ZN9rocsparseL19csxsldu_fill_kernelILj1024EL20rocsparse_diag_type_0ELS1_1E21rocsparse_complex_numIdEiiEEvT4_PKT3_PKS4_PKT2_21rocsparse_index_base_S7_PS4_PSA_SD_S7_SE_SF_SD_SF_,@function
_ZN9rocsparseL19csxsldu_fill_kernelILj1024EL20rocsparse_diag_type_0ELS1_1E21rocsparse_complex_numIdEiiEEvT4_PKT3_PKS4_PKT2_21rocsparse_index_base_S7_PS4_PSA_SD_S7_SE_SF_SD_SF_: ; @_ZN9rocsparseL19csxsldu_fill_kernelILj1024EL20rocsparse_diag_type_0ELS1_1E21rocsparse_complex_numIdEiiEEvT4_PKT3_PKS4_PKT2_21rocsparse_index_base_S7_PS4_PSA_SD_S7_SE_SF_SD_SF_
; %bb.0:
	s_load_dword s0, s[4:5], 0x7c
	s_load_dword s1, s[4:5], 0x0
	s_waitcnt lgkmcnt(0)
	s_and_b32 s0, s0, 0xffff
	s_mul_i32 s6, s6, s0
	v_add_u32_e32 v2, s6, v0
	v_cmp_gt_i32_e32 vcc, s1, v2
	s_and_saveexec_b64 s[0:1], vcc
	s_cbranch_execz .LBB14_10
; %bb.1:
	s_load_dwordx4 s[8:11], s[4:5], 0x8
	s_load_dwordx2 s[16:17], s[4:5], 0x18
	s_load_dwordx4 s[0:3], s[4:5], 0x48
	v_ashrrev_i32_e32 v3, 31, v2
	v_lshlrev_b64 v[4:5], 2, v[2:3]
	s_waitcnt lgkmcnt(0)
	v_mov_b32_e32 v1, s9
	v_add_co_u32_e32 v0, vcc, s8, v4
	v_addc_co_u32_e32 v1, vcc, v1, v5, vcc
	global_load_dwordx2 v[6:7], v[0:1], off
	v_mov_b32_e32 v1, s1
	v_add_co_u32_e32 v0, vcc, s0, v4
	v_addc_co_u32_e32 v1, vcc, v1, v5, vcc
	global_load_dword v11, v[0:1], off
	s_load_dword s22, s[4:5], 0x20
	s_load_dwordx2 s[6:7], s[4:5], 0x58
	s_waitcnt vmcnt(1) lgkmcnt(0)
	v_subrev_u32_e32 v0, s22, v6
	v_subrev_u32_e32 v10, s22, v7
	v_cmp_lt_i32_e32 vcc, v6, v7
	s_and_saveexec_b64 s[8:9], vcc
	s_cbranch_execz .LBB14_7
; %bb.2:
	s_load_dwordx4 s[12:15], s[4:5], 0x28
	s_load_dwordx2 s[18:19], s[4:5], 0x38
	s_load_dword s23, s[4:5], 0x40
	v_mov_b32_e32 v8, s11
	v_mov_b32_e32 v9, s17
	s_waitcnt lgkmcnt(0)
	v_mov_b32_e32 v1, s13
	v_add_co_u32_e32 v4, vcc, s12, v4
	v_addc_co_u32_e32 v5, vcc, v1, v5, vcc
	global_load_dword v3, v[4:5], off
	v_ashrrev_i32_e32 v1, 31, v0
	v_lshlrev_b64 v[4:5], 2, v[0:1]
	v_add_co_u32_e32 v4, vcc, s10, v4
	v_lshlrev_b64 v[6:7], 4, v[0:1]
	v_addc_co_u32_e32 v5, vcc, v8, v5, vcc
	v_add_co_u32_e32 v6, vcc, s16, v6
	v_addc_co_u32_e32 v7, vcc, v9, v7, vcc
	s_mov_b64 s[12:13], 0
                                        ; implicit-def: $sgpr0_sgpr1
	s_waitcnt vmcnt(0)
	v_subrev_u32_e32 v8, s23, v3
	s_branch .LBB14_4
.LBB14_3:                               ;   in Loop: Header=BB14_4 Depth=1
	s_or_b64 exec, exec, s[20:21]
	s_and_b64 s[20:21], exec, s[0:1]
	s_or_b64 s[12:13], s[20:21], s[12:13]
	s_andn2_b64 exec, exec, s[12:13]
	s_cbranch_execz .LBB14_6
.LBB14_4:                               ; =>This Inner Loop Header: Depth=1
	global_load_dword v1, v[4:5], off
	s_or_b64 s[0:1], s[0:1], exec
	s_waitcnt vmcnt(0)
	v_subrev_u32_e32 v1, s22, v1
	v_cmp_ge_i32_e32 vcc, v2, v1
	s_and_saveexec_b64 s[20:21], vcc
	s_cbranch_execz .LBB14_3
; %bb.5:                                ;   in Loop: Header=BB14_4 Depth=1
	v_ashrrev_i32_e32 v9, 31, v8
	v_lshlrev_b64 v[12:13], 2, v[8:9]
	v_mov_b32_e32 v3, s15
	v_add_co_u32_e32 v12, vcc, s14, v12
	v_addc_co_u32_e32 v13, vcc, v3, v13, vcc
	v_add_u32_e32 v1, s23, v1
	global_store_dword v[12:13], v1, off
	global_load_dwordx4 v[12:15], v[6:7], off
	v_add_co_u32_e32 v4, vcc, 4, v4
	v_lshlrev_b64 v[16:17], 4, v[8:9]
	v_mov_b32_e32 v1, s19
	v_add_u32_e32 v0, 1, v0
	v_addc_co_u32_e32 v5, vcc, 0, v5, vcc
	s_andn2_b64 s[24:25], s[0:1], exec
	v_add_co_u32_e64 v16, s[0:1], s18, v16
	v_cmp_ge_i32_e32 vcc, v0, v10
	v_addc_co_u32_e64 v17, s[0:1], v1, v17, s[0:1]
	s_and_b64 s[0:1], vcc, exec
	v_add_co_u32_e32 v6, vcc, 16, v6
	v_add_u32_e32 v8, 1, v8
	v_addc_co_u32_e32 v7, vcc, 0, v7, vcc
	s_or_b64 s[0:1], s[24:25], s[0:1]
	s_waitcnt vmcnt(0)
	global_store_dwordx4 v[16:17], v[12:15], off
	s_branch .LBB14_3
.LBB14_6:
	s_or_b64 exec, exec, s[12:13]
.LBB14_7:
	s_or_b64 exec, exec, s[8:9]
	v_cmp_lt_i32_e32 vcc, v0, v10
	s_and_b64 exec, exec, vcc
	s_cbranch_execz .LBB14_10
; %bb.8:
	s_load_dword s0, s[4:5], 0x60
	v_ashrrev_i32_e32 v1, 31, v0
	v_lshlrev_b64 v[2:3], 2, v[0:1]
	v_mov_b32_e32 v4, s11
	v_add_co_u32_e32 v2, vcc, s10, v2
	v_addc_co_u32_e32 v3, vcc, v4, v3, vcc
	v_lshlrev_b64 v[4:5], 4, v[0:1]
	v_mov_b32_e32 v1, s17
	v_add_co_u32_e32 v4, vcc, s16, v4
	s_waitcnt lgkmcnt(0)
	s_sub_i32 s8, s0, s22
	v_addc_co_u32_e32 v5, vcc, v1, v5, vcc
	s_waitcnt vmcnt(0)
	v_subrev_u32_e32 v6, s0, v11
	s_mov_b64 s[4:5], 0
	v_mov_b32_e32 v1, s3
	v_mov_b32_e32 v8, s7
.LBB14_9:                               ; =>This Inner Loop Header: Depth=1
	global_load_dword v9, v[2:3], off
	v_ashrrev_i32_e32 v7, 31, v6
	v_lshlrev_b64 v[12:13], 2, v[6:7]
	v_add_co_u32_e32 v12, vcc, s2, v12
	v_addc_co_u32_e32 v13, vcc, v1, v13, vcc
	v_add_co_u32_e32 v2, vcc, 4, v2
	v_add_u32_e32 v0, 1, v0
	v_addc_co_u32_e32 v3, vcc, 0, v3, vcc
	v_lshlrev_b64 v[16:17], 4, v[6:7]
	v_cmp_ge_i32_e32 vcc, v0, v10
	v_add_co_u32_e64 v16, s[0:1], s6, v16
	s_or_b64 s[4:5], vcc, s[4:5]
	v_add_u32_e32 v6, 1, v6
	v_addc_co_u32_e64 v17, s[0:1], v8, v17, s[0:1]
	s_waitcnt vmcnt(0)
	v_add_u32_e32 v9, s8, v9
	global_store_dword v[12:13], v9, off
	global_load_dwordx4 v[12:15], v[4:5], off
	v_add_co_u32_e32 v4, vcc, 16, v4
	v_addc_co_u32_e32 v5, vcc, 0, v5, vcc
	s_waitcnt vmcnt(0)
	global_store_dwordx4 v[16:17], v[12:15], off
	s_andn2_b64 exec, exec, s[4:5]
	s_cbranch_execnz .LBB14_9
.LBB14_10:
	s_endpgm
	.section	.rodata,"a",@progbits
	.p2align	6, 0x0
	.amdhsa_kernel _ZN9rocsparseL19csxsldu_fill_kernelILj1024EL20rocsparse_diag_type_0ELS1_1E21rocsparse_complex_numIdEiiEEvT4_PKT3_PKS4_PKT2_21rocsparse_index_base_S7_PS4_PSA_SD_S7_SE_SF_SD_SF_
		.amdhsa_group_segment_fixed_size 0
		.amdhsa_private_segment_fixed_size 0
		.amdhsa_kernarg_size 368
		.amdhsa_user_sgpr_count 6
		.amdhsa_user_sgpr_private_segment_buffer 1
		.amdhsa_user_sgpr_dispatch_ptr 0
		.amdhsa_user_sgpr_queue_ptr 0
		.amdhsa_user_sgpr_kernarg_segment_ptr 1
		.amdhsa_user_sgpr_dispatch_id 0
		.amdhsa_user_sgpr_flat_scratch_init 0
		.amdhsa_user_sgpr_kernarg_preload_length 0
		.amdhsa_user_sgpr_kernarg_preload_offset 0
		.amdhsa_user_sgpr_private_segment_size 0
		.amdhsa_uses_dynamic_stack 0
		.amdhsa_system_sgpr_private_segment_wavefront_offset 0
		.amdhsa_system_sgpr_workgroup_id_x 1
		.amdhsa_system_sgpr_workgroup_id_y 0
		.amdhsa_system_sgpr_workgroup_id_z 0
		.amdhsa_system_sgpr_workgroup_info 0
		.amdhsa_system_vgpr_workitem_id 0
		.amdhsa_next_free_vgpr 18
		.amdhsa_next_free_sgpr 26
		.amdhsa_accum_offset 20
		.amdhsa_reserve_vcc 1
		.amdhsa_reserve_flat_scratch 0
		.amdhsa_float_round_mode_32 0
		.amdhsa_float_round_mode_16_64 0
		.amdhsa_float_denorm_mode_32 3
		.amdhsa_float_denorm_mode_16_64 3
		.amdhsa_dx10_clamp 1
		.amdhsa_ieee_mode 1
		.amdhsa_fp16_overflow 0
		.amdhsa_tg_split 0
		.amdhsa_exception_fp_ieee_invalid_op 0
		.amdhsa_exception_fp_denorm_src 0
		.amdhsa_exception_fp_ieee_div_zero 0
		.amdhsa_exception_fp_ieee_overflow 0
		.amdhsa_exception_fp_ieee_underflow 0
		.amdhsa_exception_fp_ieee_inexact 0
		.amdhsa_exception_int_div_zero 0
	.end_amdhsa_kernel
	.section	.text._ZN9rocsparseL19csxsldu_fill_kernelILj1024EL20rocsparse_diag_type_0ELS1_1E21rocsparse_complex_numIdEiiEEvT4_PKT3_PKS4_PKT2_21rocsparse_index_base_S7_PS4_PSA_SD_S7_SE_SF_SD_SF_,"axG",@progbits,_ZN9rocsparseL19csxsldu_fill_kernelILj1024EL20rocsparse_diag_type_0ELS1_1E21rocsparse_complex_numIdEiiEEvT4_PKT3_PKS4_PKT2_21rocsparse_index_base_S7_PS4_PSA_SD_S7_SE_SF_SD_SF_,comdat
.Lfunc_end14:
	.size	_ZN9rocsparseL19csxsldu_fill_kernelILj1024EL20rocsparse_diag_type_0ELS1_1E21rocsparse_complex_numIdEiiEEvT4_PKT3_PKS4_PKT2_21rocsparse_index_base_S7_PS4_PSA_SD_S7_SE_SF_SD_SF_, .Lfunc_end14-_ZN9rocsparseL19csxsldu_fill_kernelILj1024EL20rocsparse_diag_type_0ELS1_1E21rocsparse_complex_numIdEiiEEvT4_PKT3_PKS4_PKT2_21rocsparse_index_base_S7_PS4_PSA_SD_S7_SE_SF_SD_SF_
                                        ; -- End function
	.section	.AMDGPU.csdata,"",@progbits
; Kernel info:
; codeLenInByte = 688
; NumSgprs: 30
; NumVgprs: 18
; NumAgprs: 0
; TotalNumVgprs: 18
; ScratchSize: 0
; MemoryBound: 0
; FloatMode: 240
; IeeeMode: 1
; LDSByteSize: 0 bytes/workgroup (compile time only)
; SGPRBlocks: 3
; VGPRBlocks: 2
; NumSGPRsForWavesPerEU: 30
; NumVGPRsForWavesPerEU: 18
; AccumOffset: 20
; Occupancy: 8
; WaveLimiterHint : 0
; COMPUTE_PGM_RSRC2:SCRATCH_EN: 0
; COMPUTE_PGM_RSRC2:USER_SGPR: 6
; COMPUTE_PGM_RSRC2:TRAP_HANDLER: 0
; COMPUTE_PGM_RSRC2:TGID_X_EN: 1
; COMPUTE_PGM_RSRC2:TGID_Y_EN: 0
; COMPUTE_PGM_RSRC2:TGID_Z_EN: 0
; COMPUTE_PGM_RSRC2:TIDIG_COMP_CNT: 0
; COMPUTE_PGM_RSRC3_GFX90A:ACCUM_OFFSET: 4
; COMPUTE_PGM_RSRC3_GFX90A:TG_SPLIT: 0
	.text
	.p2alignl 6, 3212836864
	.fill 256, 4, 3212836864
	.type	__hip_cuid_cbae082b6293cc9a,@object ; @__hip_cuid_cbae082b6293cc9a
	.section	.bss,"aw",@nobits
	.globl	__hip_cuid_cbae082b6293cc9a
__hip_cuid_cbae082b6293cc9a:
	.byte	0                               ; 0x0
	.size	__hip_cuid_cbae082b6293cc9a, 1

	.ident	"AMD clang version 19.0.0git (https://github.com/RadeonOpenCompute/llvm-project roc-6.4.0 25133 c7fe45cf4b819c5991fe208aaa96edf142730f1d)"
	.section	".note.GNU-stack","",@progbits
	.addrsig
	.addrsig_sym __hip_cuid_cbae082b6293cc9a
	.amdgpu_metadata
---
amdhsa.kernels:
  - .agpr_count:     0
    .args:
      - .offset:         0
        .size:           4
        .value_kind:     by_value
      - .address_space:  global
        .offset:         8
        .size:           8
        .value_kind:     global_buffer
      - .address_space:  global
        .offset:         16
        .size:           8
        .value_kind:     global_buffer
      - .address_space:  global
        .offset:         24
        .size:           8
        .value_kind:     global_buffer
      - .offset:         32
        .size:           4
        .value_kind:     by_value
      - .address_space:  global
        .offset:         40
        .size:           8
        .value_kind:     global_buffer
      - .address_space:  global
        .offset:         48
        .size:           8
        .value_kind:     global_buffer
      - .address_space:  global
        .offset:         56
        .size:           8
        .value_kind:     global_buffer
      - .offset:         64
        .size:           4
        .value_kind:     by_value
      - .address_space:  global
        .offset:         72
        .size:           8
        .value_kind:     global_buffer
      - .address_space:  global
        .offset:         80
        .size:           8
        .value_kind:     global_buffer
      - .address_space:  global
        .offset:         88
        .size:           8
        .value_kind:     global_buffer
      - .offset:         96
        .size:           4
        .value_kind:     by_value
      - .address_space:  global
        .offset:         104
        .size:           8
        .value_kind:     global_buffer
      - .offset:         112
        .size:           4
        .value_kind:     hidden_block_count_x
      - .offset:         116
        .size:           4
        .value_kind:     hidden_block_count_y
      - .offset:         120
        .size:           4
        .value_kind:     hidden_block_count_z
      - .offset:         124
        .size:           2
        .value_kind:     hidden_group_size_x
      - .offset:         126
        .size:           2
        .value_kind:     hidden_group_size_y
      - .offset:         128
        .size:           2
        .value_kind:     hidden_group_size_z
      - .offset:         130
        .size:           2
        .value_kind:     hidden_remainder_x
      - .offset:         132
        .size:           2
        .value_kind:     hidden_remainder_y
      - .offset:         134
        .size:           2
        .value_kind:     hidden_remainder_z
      - .offset:         152
        .size:           8
        .value_kind:     hidden_global_offset_x
      - .offset:         160
        .size:           8
        .value_kind:     hidden_global_offset_y
      - .offset:         168
        .size:           8
        .value_kind:     hidden_global_offset_z
      - .offset:         176
        .size:           2
        .value_kind:     hidden_grid_dims
    .group_segment_fixed_size: 0
    .kernarg_segment_align: 8
    .kernarg_segment_size: 368
    .language:       OpenCL C
    .language_version:
      - 2
      - 0
    .max_flat_workgroup_size: 1024
    .name:           _ZN9rocsparseL19csxsldu_fill_kernelILj1024EL20rocsparse_diag_type_1ELS1_0EiiiEEvT4_PKT3_PKS2_PKT2_21rocsparse_index_base_S5_PS2_PS8_SB_S5_SC_SD_SB_SD_
    .private_segment_fixed_size: 0
    .sgpr_count:     30
    .sgpr_spill_count: 0
    .symbol:         _ZN9rocsparseL19csxsldu_fill_kernelILj1024EL20rocsparse_diag_type_1ELS1_0EiiiEEvT4_PKT3_PKS2_PKT2_21rocsparse_index_base_S5_PS2_PS8_SB_S5_SC_SD_SB_SD_.kd
    .uniform_work_group_size: 1
    .uses_dynamic_stack: false
    .vgpr_count:     16
    .vgpr_spill_count: 0
    .wavefront_size: 64
  - .agpr_count:     0
    .args:
      - .offset:         0
        .size:           4
        .value_kind:     by_value
      - .address_space:  global
        .offset:         8
        .size:           8
        .value_kind:     global_buffer
      - .address_space:  global
        .offset:         16
        .size:           8
        .value_kind:     global_buffer
      - .address_space:  global
        .offset:         24
        .size:           8
        .value_kind:     global_buffer
      - .offset:         32
        .size:           4
        .value_kind:     by_value
      - .address_space:  global
        .offset:         40
        .size:           8
        .value_kind:     global_buffer
      - .address_space:  global
        .offset:         48
        .size:           8
        .value_kind:     global_buffer
      - .address_space:  global
        .offset:         56
        .size:           8
        .value_kind:     global_buffer
      - .offset:         64
        .size:           4
        .value_kind:     by_value
      - .address_space:  global
        .offset:         72
        .size:           8
        .value_kind:     global_buffer
      - .address_space:  global
        .offset:         80
        .size:           8
        .value_kind:     global_buffer
      - .address_space:  global
        .offset:         88
        .size:           8
        .value_kind:     global_buffer
      - .offset:         96
        .size:           4
        .value_kind:     by_value
      - .address_space:  global
        .offset:         104
        .size:           8
        .value_kind:     global_buffer
      - .offset:         112
        .size:           4
        .value_kind:     hidden_block_count_x
      - .offset:         116
        .size:           4
        .value_kind:     hidden_block_count_y
      - .offset:         120
        .size:           4
        .value_kind:     hidden_block_count_z
      - .offset:         124
        .size:           2
        .value_kind:     hidden_group_size_x
      - .offset:         126
        .size:           2
        .value_kind:     hidden_group_size_y
      - .offset:         128
        .size:           2
        .value_kind:     hidden_group_size_z
      - .offset:         130
        .size:           2
        .value_kind:     hidden_remainder_x
      - .offset:         132
        .size:           2
        .value_kind:     hidden_remainder_y
      - .offset:         134
        .size:           2
        .value_kind:     hidden_remainder_z
      - .offset:         152
        .size:           8
        .value_kind:     hidden_global_offset_x
      - .offset:         160
        .size:           8
        .value_kind:     hidden_global_offset_y
      - .offset:         168
        .size:           8
        .value_kind:     hidden_global_offset_z
      - .offset:         176
        .size:           2
        .value_kind:     hidden_grid_dims
    .group_segment_fixed_size: 0
    .kernarg_segment_align: 8
    .kernarg_segment_size: 368
    .language:       OpenCL C
    .language_version:
      - 2
      - 0
    .max_flat_workgroup_size: 1024
    .name:           _ZN9rocsparseL19csxsldu_fill_kernelILj1024EL20rocsparse_diag_type_1ELS1_1EiiiEEvT4_PKT3_PKS2_PKT2_21rocsparse_index_base_S5_PS2_PS8_SB_S5_SC_SD_SB_SD_
    .private_segment_fixed_size: 0
    .sgpr_count:     34
    .sgpr_spill_count: 0
    .symbol:         _ZN9rocsparseL19csxsldu_fill_kernelILj1024EL20rocsparse_diag_type_1ELS1_1EiiiEEvT4_PKT3_PKS2_PKT2_21rocsparse_index_base_S5_PS2_PS8_SB_S5_SC_SD_SB_SD_.kd
    .uniform_work_group_size: 1
    .uses_dynamic_stack: false
    .vgpr_count:     19
    .vgpr_spill_count: 0
    .wavefront_size: 64
  - .agpr_count:     0
    .args:
      - .offset:         0
        .size:           4
        .value_kind:     by_value
      - .address_space:  global
        .offset:         8
        .size:           8
        .value_kind:     global_buffer
      - .address_space:  global
        .offset:         16
        .size:           8
        .value_kind:     global_buffer
      - .address_space:  global
        .offset:         24
        .size:           8
        .value_kind:     global_buffer
      - .offset:         32
        .size:           4
        .value_kind:     by_value
      - .address_space:  global
        .offset:         40
        .size:           8
        .value_kind:     global_buffer
      - .address_space:  global
        .offset:         48
        .size:           8
        .value_kind:     global_buffer
      - .address_space:  global
        .offset:         56
        .size:           8
        .value_kind:     global_buffer
      - .offset:         64
        .size:           4
        .value_kind:     by_value
      - .address_space:  global
        .offset:         72
        .size:           8
        .value_kind:     global_buffer
      - .address_space:  global
        .offset:         80
        .size:           8
        .value_kind:     global_buffer
      - .address_space:  global
        .offset:         88
        .size:           8
        .value_kind:     global_buffer
      - .offset:         96
        .size:           4
        .value_kind:     by_value
      - .address_space:  global
        .offset:         104
        .size:           8
        .value_kind:     global_buffer
      - .offset:         112
        .size:           4
        .value_kind:     hidden_block_count_x
      - .offset:         116
        .size:           4
        .value_kind:     hidden_block_count_y
      - .offset:         120
        .size:           4
        .value_kind:     hidden_block_count_z
      - .offset:         124
        .size:           2
        .value_kind:     hidden_group_size_x
      - .offset:         126
        .size:           2
        .value_kind:     hidden_group_size_y
      - .offset:         128
        .size:           2
        .value_kind:     hidden_group_size_z
      - .offset:         130
        .size:           2
        .value_kind:     hidden_remainder_x
      - .offset:         132
        .size:           2
        .value_kind:     hidden_remainder_y
      - .offset:         134
        .size:           2
        .value_kind:     hidden_remainder_z
      - .offset:         152
        .size:           8
        .value_kind:     hidden_global_offset_x
      - .offset:         160
        .size:           8
        .value_kind:     hidden_global_offset_y
      - .offset:         168
        .size:           8
        .value_kind:     hidden_global_offset_z
      - .offset:         176
        .size:           2
        .value_kind:     hidden_grid_dims
    .group_segment_fixed_size: 0
    .kernarg_segment_align: 8
    .kernarg_segment_size: 368
    .language:       OpenCL C
    .language_version:
      - 2
      - 0
    .max_flat_workgroup_size: 1024
    .name:           _ZN9rocsparseL19csxsldu_fill_kernelILj1024EL20rocsparse_diag_type_0ELS1_1EiiiEEvT4_PKT3_PKS2_PKT2_21rocsparse_index_base_S5_PS2_PS8_SB_S5_SC_SD_SB_SD_
    .private_segment_fixed_size: 0
    .sgpr_count:     30
    .sgpr_spill_count: 0
    .symbol:         _ZN9rocsparseL19csxsldu_fill_kernelILj1024EL20rocsparse_diag_type_0ELS1_1EiiiEEvT4_PKT3_PKS2_PKT2_21rocsparse_index_base_S5_PS2_PS8_SB_S5_SC_SD_SB_SD_.kd
    .uniform_work_group_size: 1
    .uses_dynamic_stack: false
    .vgpr_count:     16
    .vgpr_spill_count: 0
    .wavefront_size: 64
  - .agpr_count:     0
    .args:
      - .offset:         0
        .size:           4
        .value_kind:     by_value
      - .address_space:  global
        .offset:         8
        .size:           8
        .value_kind:     global_buffer
      - .address_space:  global
        .offset:         16
        .size:           8
        .value_kind:     global_buffer
      - .address_space:  global
        .offset:         24
        .size:           8
        .value_kind:     global_buffer
      - .offset:         32
        .size:           4
        .value_kind:     by_value
      - .address_space:  global
        .offset:         40
        .size:           8
        .value_kind:     global_buffer
      - .address_space:  global
        .offset:         48
        .size:           8
        .value_kind:     global_buffer
      - .address_space:  global
        .offset:         56
        .size:           8
        .value_kind:     global_buffer
      - .offset:         64
        .size:           4
        .value_kind:     by_value
      - .address_space:  global
        .offset:         72
        .size:           8
        .value_kind:     global_buffer
      - .address_space:  global
        .offset:         80
        .size:           8
        .value_kind:     global_buffer
      - .address_space:  global
        .offset:         88
        .size:           8
        .value_kind:     global_buffer
      - .offset:         96
        .size:           4
        .value_kind:     by_value
      - .address_space:  global
        .offset:         104
        .size:           8
        .value_kind:     global_buffer
      - .offset:         112
        .size:           4
        .value_kind:     hidden_block_count_x
      - .offset:         116
        .size:           4
        .value_kind:     hidden_block_count_y
      - .offset:         120
        .size:           4
        .value_kind:     hidden_block_count_z
      - .offset:         124
        .size:           2
        .value_kind:     hidden_group_size_x
      - .offset:         126
        .size:           2
        .value_kind:     hidden_group_size_y
      - .offset:         128
        .size:           2
        .value_kind:     hidden_group_size_z
      - .offset:         130
        .size:           2
        .value_kind:     hidden_remainder_x
      - .offset:         132
        .size:           2
        .value_kind:     hidden_remainder_y
      - .offset:         134
        .size:           2
        .value_kind:     hidden_remainder_z
      - .offset:         152
        .size:           8
        .value_kind:     hidden_global_offset_x
      - .offset:         160
        .size:           8
        .value_kind:     hidden_global_offset_y
      - .offset:         168
        .size:           8
        .value_kind:     hidden_global_offset_z
      - .offset:         176
        .size:           2
        .value_kind:     hidden_grid_dims
    .group_segment_fixed_size: 0
    .kernarg_segment_align: 8
    .kernarg_segment_size: 368
    .language:       OpenCL C
    .language_version:
      - 2
      - 0
    .max_flat_workgroup_size: 1024
    .name:           _ZN9rocsparseL19csxsldu_fill_kernelILj1024EL20rocsparse_diag_type_1ELS1_0EfiiEEvT4_PKT3_PKS2_PKT2_21rocsparse_index_base_S5_PS2_PS8_SB_S5_SC_SD_SB_SD_
    .private_segment_fixed_size: 0
    .sgpr_count:     30
    .sgpr_spill_count: 0
    .symbol:         _ZN9rocsparseL19csxsldu_fill_kernelILj1024EL20rocsparse_diag_type_1ELS1_0EfiiEEvT4_PKT3_PKS2_PKT2_21rocsparse_index_base_S5_PS2_PS8_SB_S5_SC_SD_SB_SD_.kd
    .uniform_work_group_size: 1
    .uses_dynamic_stack: false
    .vgpr_count:     17
    .vgpr_spill_count: 0
    .wavefront_size: 64
  - .agpr_count:     0
    .args:
      - .offset:         0
        .size:           4
        .value_kind:     by_value
      - .address_space:  global
        .offset:         8
        .size:           8
        .value_kind:     global_buffer
      - .address_space:  global
        .offset:         16
        .size:           8
        .value_kind:     global_buffer
      - .address_space:  global
        .offset:         24
        .size:           8
        .value_kind:     global_buffer
      - .offset:         32
        .size:           4
        .value_kind:     by_value
      - .address_space:  global
        .offset:         40
        .size:           8
        .value_kind:     global_buffer
      - .address_space:  global
        .offset:         48
        .size:           8
        .value_kind:     global_buffer
      - .address_space:  global
        .offset:         56
        .size:           8
        .value_kind:     global_buffer
      - .offset:         64
        .size:           4
        .value_kind:     by_value
      - .address_space:  global
        .offset:         72
        .size:           8
        .value_kind:     global_buffer
      - .address_space:  global
        .offset:         80
        .size:           8
        .value_kind:     global_buffer
      - .address_space:  global
        .offset:         88
        .size:           8
        .value_kind:     global_buffer
      - .offset:         96
        .size:           4
        .value_kind:     by_value
      - .address_space:  global
        .offset:         104
        .size:           8
        .value_kind:     global_buffer
      - .offset:         112
        .size:           4
        .value_kind:     hidden_block_count_x
      - .offset:         116
        .size:           4
        .value_kind:     hidden_block_count_y
      - .offset:         120
        .size:           4
        .value_kind:     hidden_block_count_z
      - .offset:         124
        .size:           2
        .value_kind:     hidden_group_size_x
      - .offset:         126
        .size:           2
        .value_kind:     hidden_group_size_y
      - .offset:         128
        .size:           2
        .value_kind:     hidden_group_size_z
      - .offset:         130
        .size:           2
        .value_kind:     hidden_remainder_x
      - .offset:         132
        .size:           2
        .value_kind:     hidden_remainder_y
      - .offset:         134
        .size:           2
        .value_kind:     hidden_remainder_z
      - .offset:         152
        .size:           8
        .value_kind:     hidden_global_offset_x
      - .offset:         160
        .size:           8
        .value_kind:     hidden_global_offset_y
      - .offset:         168
        .size:           8
        .value_kind:     hidden_global_offset_z
      - .offset:         176
        .size:           2
        .value_kind:     hidden_grid_dims
    .group_segment_fixed_size: 0
    .kernarg_segment_align: 8
    .kernarg_segment_size: 368
    .language:       OpenCL C
    .language_version:
      - 2
      - 0
    .max_flat_workgroup_size: 1024
    .name:           _ZN9rocsparseL19csxsldu_fill_kernelILj1024EL20rocsparse_diag_type_1ELS1_1EfiiEEvT4_PKT3_PKS2_PKT2_21rocsparse_index_base_S5_PS2_PS8_SB_S5_SC_SD_SB_SD_
    .private_segment_fixed_size: 0
    .sgpr_count:     34
    .sgpr_spill_count: 0
    .symbol:         _ZN9rocsparseL19csxsldu_fill_kernelILj1024EL20rocsparse_diag_type_1ELS1_1EfiiEEvT4_PKT3_PKS2_PKT2_21rocsparse_index_base_S5_PS2_PS8_SB_S5_SC_SD_SB_SD_.kd
    .uniform_work_group_size: 1
    .uses_dynamic_stack: false
    .vgpr_count:     23
    .vgpr_spill_count: 0
    .wavefront_size: 64
  - .agpr_count:     0
    .args:
      - .offset:         0
        .size:           4
        .value_kind:     by_value
      - .address_space:  global
        .offset:         8
        .size:           8
        .value_kind:     global_buffer
      - .address_space:  global
        .offset:         16
        .size:           8
        .value_kind:     global_buffer
      - .address_space:  global
        .offset:         24
        .size:           8
        .value_kind:     global_buffer
      - .offset:         32
        .size:           4
        .value_kind:     by_value
      - .address_space:  global
        .offset:         40
        .size:           8
        .value_kind:     global_buffer
      - .address_space:  global
        .offset:         48
        .size:           8
        .value_kind:     global_buffer
      - .address_space:  global
        .offset:         56
        .size:           8
        .value_kind:     global_buffer
      - .offset:         64
        .size:           4
        .value_kind:     by_value
      - .address_space:  global
        .offset:         72
        .size:           8
        .value_kind:     global_buffer
      - .address_space:  global
        .offset:         80
        .size:           8
        .value_kind:     global_buffer
      - .address_space:  global
        .offset:         88
        .size:           8
        .value_kind:     global_buffer
      - .offset:         96
        .size:           4
        .value_kind:     by_value
      - .address_space:  global
        .offset:         104
        .size:           8
        .value_kind:     global_buffer
      - .offset:         112
        .size:           4
        .value_kind:     hidden_block_count_x
      - .offset:         116
        .size:           4
        .value_kind:     hidden_block_count_y
      - .offset:         120
        .size:           4
        .value_kind:     hidden_block_count_z
      - .offset:         124
        .size:           2
        .value_kind:     hidden_group_size_x
      - .offset:         126
        .size:           2
        .value_kind:     hidden_group_size_y
      - .offset:         128
        .size:           2
        .value_kind:     hidden_group_size_z
      - .offset:         130
        .size:           2
        .value_kind:     hidden_remainder_x
      - .offset:         132
        .size:           2
        .value_kind:     hidden_remainder_y
      - .offset:         134
        .size:           2
        .value_kind:     hidden_remainder_z
      - .offset:         152
        .size:           8
        .value_kind:     hidden_global_offset_x
      - .offset:         160
        .size:           8
        .value_kind:     hidden_global_offset_y
      - .offset:         168
        .size:           8
        .value_kind:     hidden_global_offset_z
      - .offset:         176
        .size:           2
        .value_kind:     hidden_grid_dims
    .group_segment_fixed_size: 0
    .kernarg_segment_align: 8
    .kernarg_segment_size: 368
    .language:       OpenCL C
    .language_version:
      - 2
      - 0
    .max_flat_workgroup_size: 1024
    .name:           _ZN9rocsparseL19csxsldu_fill_kernelILj1024EL20rocsparse_diag_type_0ELS1_1EfiiEEvT4_PKT3_PKS2_PKT2_21rocsparse_index_base_S5_PS2_PS8_SB_S5_SC_SD_SB_SD_
    .private_segment_fixed_size: 0
    .sgpr_count:     30
    .sgpr_spill_count: 0
    .symbol:         _ZN9rocsparseL19csxsldu_fill_kernelILj1024EL20rocsparse_diag_type_0ELS1_1EfiiEEvT4_PKT3_PKS2_PKT2_21rocsparse_index_base_S5_PS2_PS8_SB_S5_SC_SD_SB_SD_.kd
    .uniform_work_group_size: 1
    .uses_dynamic_stack: false
    .vgpr_count:     17
    .vgpr_spill_count: 0
    .wavefront_size: 64
  - .agpr_count:     0
    .args:
      - .offset:         0
        .size:           4
        .value_kind:     by_value
      - .address_space:  global
        .offset:         8
        .size:           8
        .value_kind:     global_buffer
      - .address_space:  global
        .offset:         16
        .size:           8
        .value_kind:     global_buffer
      - .address_space:  global
        .offset:         24
        .size:           8
        .value_kind:     global_buffer
      - .offset:         32
        .size:           4
        .value_kind:     by_value
      - .address_space:  global
        .offset:         40
        .size:           8
        .value_kind:     global_buffer
      - .address_space:  global
        .offset:         48
        .size:           8
        .value_kind:     global_buffer
      - .address_space:  global
        .offset:         56
        .size:           8
        .value_kind:     global_buffer
      - .offset:         64
        .size:           4
        .value_kind:     by_value
      - .address_space:  global
        .offset:         72
        .size:           8
        .value_kind:     global_buffer
      - .address_space:  global
        .offset:         80
        .size:           8
        .value_kind:     global_buffer
      - .address_space:  global
        .offset:         88
        .size:           8
        .value_kind:     global_buffer
      - .offset:         96
        .size:           4
        .value_kind:     by_value
      - .address_space:  global
        .offset:         104
        .size:           8
        .value_kind:     global_buffer
      - .offset:         112
        .size:           4
        .value_kind:     hidden_block_count_x
      - .offset:         116
        .size:           4
        .value_kind:     hidden_block_count_y
      - .offset:         120
        .size:           4
        .value_kind:     hidden_block_count_z
      - .offset:         124
        .size:           2
        .value_kind:     hidden_group_size_x
      - .offset:         126
        .size:           2
        .value_kind:     hidden_group_size_y
      - .offset:         128
        .size:           2
        .value_kind:     hidden_group_size_z
      - .offset:         130
        .size:           2
        .value_kind:     hidden_remainder_x
      - .offset:         132
        .size:           2
        .value_kind:     hidden_remainder_y
      - .offset:         134
        .size:           2
        .value_kind:     hidden_remainder_z
      - .offset:         152
        .size:           8
        .value_kind:     hidden_global_offset_x
      - .offset:         160
        .size:           8
        .value_kind:     hidden_global_offset_y
      - .offset:         168
        .size:           8
        .value_kind:     hidden_global_offset_z
      - .offset:         176
        .size:           2
        .value_kind:     hidden_grid_dims
    .group_segment_fixed_size: 0
    .kernarg_segment_align: 8
    .kernarg_segment_size: 368
    .language:       OpenCL C
    .language_version:
      - 2
      - 0
    .max_flat_workgroup_size: 1024
    .name:           _ZN9rocsparseL19csxsldu_fill_kernelILj1024EL20rocsparse_diag_type_1ELS1_0EdiiEEvT4_PKT3_PKS2_PKT2_21rocsparse_index_base_S5_PS2_PS8_SB_S5_SC_SD_SB_SD_
    .private_segment_fixed_size: 0
    .sgpr_count:     30
    .sgpr_spill_count: 0
    .symbol:         _ZN9rocsparseL19csxsldu_fill_kernelILj1024EL20rocsparse_diag_type_1ELS1_0EdiiEEvT4_PKT3_PKS2_PKT2_21rocsparse_index_base_S5_PS2_PS8_SB_S5_SC_SD_SB_SD_.kd
    .uniform_work_group_size: 1
    .uses_dynamic_stack: false
    .vgpr_count:     19
    .vgpr_spill_count: 0
    .wavefront_size: 64
  - .agpr_count:     0
    .args:
      - .offset:         0
        .size:           4
        .value_kind:     by_value
      - .address_space:  global
        .offset:         8
        .size:           8
        .value_kind:     global_buffer
      - .address_space:  global
        .offset:         16
        .size:           8
        .value_kind:     global_buffer
      - .address_space:  global
        .offset:         24
        .size:           8
        .value_kind:     global_buffer
      - .offset:         32
        .size:           4
        .value_kind:     by_value
      - .address_space:  global
        .offset:         40
        .size:           8
        .value_kind:     global_buffer
      - .address_space:  global
        .offset:         48
        .size:           8
        .value_kind:     global_buffer
      - .address_space:  global
        .offset:         56
        .size:           8
        .value_kind:     global_buffer
      - .offset:         64
        .size:           4
        .value_kind:     by_value
      - .address_space:  global
        .offset:         72
        .size:           8
        .value_kind:     global_buffer
      - .address_space:  global
        .offset:         80
        .size:           8
        .value_kind:     global_buffer
      - .address_space:  global
        .offset:         88
        .size:           8
        .value_kind:     global_buffer
      - .offset:         96
        .size:           4
        .value_kind:     by_value
      - .address_space:  global
        .offset:         104
        .size:           8
        .value_kind:     global_buffer
      - .offset:         112
        .size:           4
        .value_kind:     hidden_block_count_x
      - .offset:         116
        .size:           4
        .value_kind:     hidden_block_count_y
      - .offset:         120
        .size:           4
        .value_kind:     hidden_block_count_z
      - .offset:         124
        .size:           2
        .value_kind:     hidden_group_size_x
      - .offset:         126
        .size:           2
        .value_kind:     hidden_group_size_y
      - .offset:         128
        .size:           2
        .value_kind:     hidden_group_size_z
      - .offset:         130
        .size:           2
        .value_kind:     hidden_remainder_x
      - .offset:         132
        .size:           2
        .value_kind:     hidden_remainder_y
      - .offset:         134
        .size:           2
        .value_kind:     hidden_remainder_z
      - .offset:         152
        .size:           8
        .value_kind:     hidden_global_offset_x
      - .offset:         160
        .size:           8
        .value_kind:     hidden_global_offset_y
      - .offset:         168
        .size:           8
        .value_kind:     hidden_global_offset_z
      - .offset:         176
        .size:           2
        .value_kind:     hidden_grid_dims
    .group_segment_fixed_size: 0
    .kernarg_segment_align: 8
    .kernarg_segment_size: 368
    .language:       OpenCL C
    .language_version:
      - 2
      - 0
    .max_flat_workgroup_size: 1024
    .name:           _ZN9rocsparseL19csxsldu_fill_kernelILj1024EL20rocsparse_diag_type_1ELS1_1EdiiEEvT4_PKT3_PKS2_PKT2_21rocsparse_index_base_S5_PS2_PS8_SB_S5_SC_SD_SB_SD_
    .private_segment_fixed_size: 0
    .sgpr_count:     34
    .sgpr_spill_count: 0
    .symbol:         _ZN9rocsparseL19csxsldu_fill_kernelILj1024EL20rocsparse_diag_type_1ELS1_1EdiiEEvT4_PKT3_PKS2_PKT2_21rocsparse_index_base_S5_PS2_PS8_SB_S5_SC_SD_SB_SD_.kd
    .uniform_work_group_size: 1
    .uses_dynamic_stack: false
    .vgpr_count:     24
    .vgpr_spill_count: 0
    .wavefront_size: 64
  - .agpr_count:     0
    .args:
      - .offset:         0
        .size:           4
        .value_kind:     by_value
      - .address_space:  global
        .offset:         8
        .size:           8
        .value_kind:     global_buffer
      - .address_space:  global
        .offset:         16
        .size:           8
        .value_kind:     global_buffer
      - .address_space:  global
        .offset:         24
        .size:           8
        .value_kind:     global_buffer
      - .offset:         32
        .size:           4
        .value_kind:     by_value
      - .address_space:  global
        .offset:         40
        .size:           8
        .value_kind:     global_buffer
      - .address_space:  global
        .offset:         48
        .size:           8
        .value_kind:     global_buffer
      - .address_space:  global
        .offset:         56
        .size:           8
        .value_kind:     global_buffer
      - .offset:         64
        .size:           4
        .value_kind:     by_value
      - .address_space:  global
        .offset:         72
        .size:           8
        .value_kind:     global_buffer
      - .address_space:  global
        .offset:         80
        .size:           8
        .value_kind:     global_buffer
      - .address_space:  global
        .offset:         88
        .size:           8
        .value_kind:     global_buffer
      - .offset:         96
        .size:           4
        .value_kind:     by_value
      - .address_space:  global
        .offset:         104
        .size:           8
        .value_kind:     global_buffer
      - .offset:         112
        .size:           4
        .value_kind:     hidden_block_count_x
      - .offset:         116
        .size:           4
        .value_kind:     hidden_block_count_y
      - .offset:         120
        .size:           4
        .value_kind:     hidden_block_count_z
      - .offset:         124
        .size:           2
        .value_kind:     hidden_group_size_x
      - .offset:         126
        .size:           2
        .value_kind:     hidden_group_size_y
      - .offset:         128
        .size:           2
        .value_kind:     hidden_group_size_z
      - .offset:         130
        .size:           2
        .value_kind:     hidden_remainder_x
      - .offset:         132
        .size:           2
        .value_kind:     hidden_remainder_y
      - .offset:         134
        .size:           2
        .value_kind:     hidden_remainder_z
      - .offset:         152
        .size:           8
        .value_kind:     hidden_global_offset_x
      - .offset:         160
        .size:           8
        .value_kind:     hidden_global_offset_y
      - .offset:         168
        .size:           8
        .value_kind:     hidden_global_offset_z
      - .offset:         176
        .size:           2
        .value_kind:     hidden_grid_dims
    .group_segment_fixed_size: 0
    .kernarg_segment_align: 8
    .kernarg_segment_size: 368
    .language:       OpenCL C
    .language_version:
      - 2
      - 0
    .max_flat_workgroup_size: 1024
    .name:           _ZN9rocsparseL19csxsldu_fill_kernelILj1024EL20rocsparse_diag_type_0ELS1_1EdiiEEvT4_PKT3_PKS2_PKT2_21rocsparse_index_base_S5_PS2_PS8_SB_S5_SC_SD_SB_SD_
    .private_segment_fixed_size: 0
    .sgpr_count:     30
    .sgpr_spill_count: 0
    .symbol:         _ZN9rocsparseL19csxsldu_fill_kernelILj1024EL20rocsparse_diag_type_0ELS1_1EdiiEEvT4_PKT3_PKS2_PKT2_21rocsparse_index_base_S5_PS2_PS8_SB_S5_SC_SD_SB_SD_.kd
    .uniform_work_group_size: 1
    .uses_dynamic_stack: false
    .vgpr_count:     19
    .vgpr_spill_count: 0
    .wavefront_size: 64
  - .agpr_count:     0
    .args:
      - .offset:         0
        .size:           4
        .value_kind:     by_value
      - .address_space:  global
        .offset:         8
        .size:           8
        .value_kind:     global_buffer
      - .address_space:  global
        .offset:         16
        .size:           8
        .value_kind:     global_buffer
      - .address_space:  global
        .offset:         24
        .size:           8
        .value_kind:     global_buffer
      - .offset:         32
        .size:           4
        .value_kind:     by_value
      - .address_space:  global
        .offset:         40
        .size:           8
        .value_kind:     global_buffer
      - .address_space:  global
        .offset:         48
        .size:           8
        .value_kind:     global_buffer
      - .address_space:  global
        .offset:         56
        .size:           8
        .value_kind:     global_buffer
      - .offset:         64
        .size:           4
        .value_kind:     by_value
      - .address_space:  global
        .offset:         72
        .size:           8
        .value_kind:     global_buffer
      - .address_space:  global
        .offset:         80
        .size:           8
        .value_kind:     global_buffer
      - .address_space:  global
        .offset:         88
        .size:           8
        .value_kind:     global_buffer
      - .offset:         96
        .size:           4
        .value_kind:     by_value
      - .address_space:  global
        .offset:         104
        .size:           8
        .value_kind:     global_buffer
      - .offset:         112
        .size:           4
        .value_kind:     hidden_block_count_x
      - .offset:         116
        .size:           4
        .value_kind:     hidden_block_count_y
      - .offset:         120
        .size:           4
        .value_kind:     hidden_block_count_z
      - .offset:         124
        .size:           2
        .value_kind:     hidden_group_size_x
      - .offset:         126
        .size:           2
        .value_kind:     hidden_group_size_y
      - .offset:         128
        .size:           2
        .value_kind:     hidden_group_size_z
      - .offset:         130
        .size:           2
        .value_kind:     hidden_remainder_x
      - .offset:         132
        .size:           2
        .value_kind:     hidden_remainder_y
      - .offset:         134
        .size:           2
        .value_kind:     hidden_remainder_z
      - .offset:         152
        .size:           8
        .value_kind:     hidden_global_offset_x
      - .offset:         160
        .size:           8
        .value_kind:     hidden_global_offset_y
      - .offset:         168
        .size:           8
        .value_kind:     hidden_global_offset_z
      - .offset:         176
        .size:           2
        .value_kind:     hidden_grid_dims
    .group_segment_fixed_size: 0
    .kernarg_segment_align: 8
    .kernarg_segment_size: 368
    .language:       OpenCL C
    .language_version:
      - 2
      - 0
    .max_flat_workgroup_size: 1024
    .name:           _ZN9rocsparseL19csxsldu_fill_kernelILj1024EL20rocsparse_diag_type_1ELS1_0E21rocsparse_complex_numIfEiiEEvT4_PKT3_PKS4_PKT2_21rocsparse_index_base_S7_PS4_PSA_SD_S7_SE_SF_SD_SF_
    .private_segment_fixed_size: 0
    .sgpr_count:     30
    .sgpr_spill_count: 0
    .symbol:         _ZN9rocsparseL19csxsldu_fill_kernelILj1024EL20rocsparse_diag_type_1ELS1_0E21rocsparse_complex_numIfEiiEEvT4_PKT3_PKS4_PKT2_21rocsparse_index_base_S7_PS4_PSA_SD_S7_SE_SF_SD_SF_.kd
    .uniform_work_group_size: 1
    .uses_dynamic_stack: false
    .vgpr_count:     16
    .vgpr_spill_count: 0
    .wavefront_size: 64
  - .agpr_count:     0
    .args:
      - .offset:         0
        .size:           4
        .value_kind:     by_value
      - .address_space:  global
        .offset:         8
        .size:           8
        .value_kind:     global_buffer
      - .address_space:  global
        .offset:         16
        .size:           8
        .value_kind:     global_buffer
      - .address_space:  global
        .offset:         24
        .size:           8
        .value_kind:     global_buffer
      - .offset:         32
        .size:           4
        .value_kind:     by_value
      - .address_space:  global
        .offset:         40
        .size:           8
        .value_kind:     global_buffer
      - .address_space:  global
        .offset:         48
        .size:           8
        .value_kind:     global_buffer
      - .address_space:  global
        .offset:         56
        .size:           8
        .value_kind:     global_buffer
      - .offset:         64
        .size:           4
        .value_kind:     by_value
      - .address_space:  global
        .offset:         72
        .size:           8
        .value_kind:     global_buffer
      - .address_space:  global
        .offset:         80
        .size:           8
        .value_kind:     global_buffer
      - .address_space:  global
        .offset:         88
        .size:           8
        .value_kind:     global_buffer
      - .offset:         96
        .size:           4
        .value_kind:     by_value
      - .address_space:  global
        .offset:         104
        .size:           8
        .value_kind:     global_buffer
      - .offset:         112
        .size:           4
        .value_kind:     hidden_block_count_x
      - .offset:         116
        .size:           4
        .value_kind:     hidden_block_count_y
      - .offset:         120
        .size:           4
        .value_kind:     hidden_block_count_z
      - .offset:         124
        .size:           2
        .value_kind:     hidden_group_size_x
      - .offset:         126
        .size:           2
        .value_kind:     hidden_group_size_y
      - .offset:         128
        .size:           2
        .value_kind:     hidden_group_size_z
      - .offset:         130
        .size:           2
        .value_kind:     hidden_remainder_x
      - .offset:         132
        .size:           2
        .value_kind:     hidden_remainder_y
      - .offset:         134
        .size:           2
        .value_kind:     hidden_remainder_z
      - .offset:         152
        .size:           8
        .value_kind:     hidden_global_offset_x
      - .offset:         160
        .size:           8
        .value_kind:     hidden_global_offset_y
      - .offset:         168
        .size:           8
        .value_kind:     hidden_global_offset_z
      - .offset:         176
        .size:           2
        .value_kind:     hidden_grid_dims
    .group_segment_fixed_size: 0
    .kernarg_segment_align: 8
    .kernarg_segment_size: 368
    .language:       OpenCL C
    .language_version:
      - 2
      - 0
    .max_flat_workgroup_size: 1024
    .name:           _ZN9rocsparseL19csxsldu_fill_kernelILj1024EL20rocsparse_diag_type_1ELS1_1E21rocsparse_complex_numIfEiiEEvT4_PKT3_PKS4_PKT2_21rocsparse_index_base_S7_PS4_PSA_SD_S7_SE_SF_SD_SF_
    .private_segment_fixed_size: 0
    .sgpr_count:     34
    .sgpr_spill_count: 0
    .symbol:         _ZN9rocsparseL19csxsldu_fill_kernelILj1024EL20rocsparse_diag_type_1ELS1_1E21rocsparse_complex_numIfEiiEEvT4_PKT3_PKS4_PKT2_21rocsparse_index_base_S7_PS4_PSA_SD_S7_SE_SF_SD_SF_.kd
    .uniform_work_group_size: 1
    .uses_dynamic_stack: false
    .vgpr_count:     20
    .vgpr_spill_count: 0
    .wavefront_size: 64
  - .agpr_count:     0
    .args:
      - .offset:         0
        .size:           4
        .value_kind:     by_value
      - .address_space:  global
        .offset:         8
        .size:           8
        .value_kind:     global_buffer
      - .address_space:  global
        .offset:         16
        .size:           8
        .value_kind:     global_buffer
      - .address_space:  global
        .offset:         24
        .size:           8
        .value_kind:     global_buffer
      - .offset:         32
        .size:           4
        .value_kind:     by_value
      - .address_space:  global
        .offset:         40
        .size:           8
        .value_kind:     global_buffer
      - .address_space:  global
        .offset:         48
        .size:           8
        .value_kind:     global_buffer
      - .address_space:  global
        .offset:         56
        .size:           8
        .value_kind:     global_buffer
      - .offset:         64
        .size:           4
        .value_kind:     by_value
      - .address_space:  global
        .offset:         72
        .size:           8
        .value_kind:     global_buffer
      - .address_space:  global
        .offset:         80
        .size:           8
        .value_kind:     global_buffer
      - .address_space:  global
        .offset:         88
        .size:           8
        .value_kind:     global_buffer
      - .offset:         96
        .size:           4
        .value_kind:     by_value
      - .address_space:  global
        .offset:         104
        .size:           8
        .value_kind:     global_buffer
      - .offset:         112
        .size:           4
        .value_kind:     hidden_block_count_x
      - .offset:         116
        .size:           4
        .value_kind:     hidden_block_count_y
      - .offset:         120
        .size:           4
        .value_kind:     hidden_block_count_z
      - .offset:         124
        .size:           2
        .value_kind:     hidden_group_size_x
      - .offset:         126
        .size:           2
        .value_kind:     hidden_group_size_y
      - .offset:         128
        .size:           2
        .value_kind:     hidden_group_size_z
      - .offset:         130
        .size:           2
        .value_kind:     hidden_remainder_x
      - .offset:         132
        .size:           2
        .value_kind:     hidden_remainder_y
      - .offset:         134
        .size:           2
        .value_kind:     hidden_remainder_z
      - .offset:         152
        .size:           8
        .value_kind:     hidden_global_offset_x
      - .offset:         160
        .size:           8
        .value_kind:     hidden_global_offset_y
      - .offset:         168
        .size:           8
        .value_kind:     hidden_global_offset_z
      - .offset:         176
        .size:           2
        .value_kind:     hidden_grid_dims
    .group_segment_fixed_size: 0
    .kernarg_segment_align: 8
    .kernarg_segment_size: 368
    .language:       OpenCL C
    .language_version:
      - 2
      - 0
    .max_flat_workgroup_size: 1024
    .name:           _ZN9rocsparseL19csxsldu_fill_kernelILj1024EL20rocsparse_diag_type_0ELS1_1E21rocsparse_complex_numIfEiiEEvT4_PKT3_PKS4_PKT2_21rocsparse_index_base_S7_PS4_PSA_SD_S7_SE_SF_SD_SF_
    .private_segment_fixed_size: 0
    .sgpr_count:     30
    .sgpr_spill_count: 0
    .symbol:         _ZN9rocsparseL19csxsldu_fill_kernelILj1024EL20rocsparse_diag_type_0ELS1_1E21rocsparse_complex_numIfEiiEEvT4_PKT3_PKS4_PKT2_21rocsparse_index_base_S7_PS4_PSA_SD_S7_SE_SF_SD_SF_.kd
    .uniform_work_group_size: 1
    .uses_dynamic_stack: false
    .vgpr_count:     16
    .vgpr_spill_count: 0
    .wavefront_size: 64
  - .agpr_count:     0
    .args:
      - .offset:         0
        .size:           4
        .value_kind:     by_value
      - .address_space:  global
        .offset:         8
        .size:           8
        .value_kind:     global_buffer
      - .address_space:  global
        .offset:         16
        .size:           8
        .value_kind:     global_buffer
      - .address_space:  global
        .offset:         24
        .size:           8
        .value_kind:     global_buffer
      - .offset:         32
        .size:           4
        .value_kind:     by_value
      - .address_space:  global
        .offset:         40
        .size:           8
        .value_kind:     global_buffer
      - .address_space:  global
        .offset:         48
        .size:           8
        .value_kind:     global_buffer
      - .address_space:  global
        .offset:         56
        .size:           8
        .value_kind:     global_buffer
      - .offset:         64
        .size:           4
        .value_kind:     by_value
      - .address_space:  global
        .offset:         72
        .size:           8
        .value_kind:     global_buffer
      - .address_space:  global
        .offset:         80
        .size:           8
        .value_kind:     global_buffer
      - .address_space:  global
        .offset:         88
        .size:           8
        .value_kind:     global_buffer
      - .offset:         96
        .size:           4
        .value_kind:     by_value
      - .address_space:  global
        .offset:         104
        .size:           8
        .value_kind:     global_buffer
      - .offset:         112
        .size:           4
        .value_kind:     hidden_block_count_x
      - .offset:         116
        .size:           4
        .value_kind:     hidden_block_count_y
      - .offset:         120
        .size:           4
        .value_kind:     hidden_block_count_z
      - .offset:         124
        .size:           2
        .value_kind:     hidden_group_size_x
      - .offset:         126
        .size:           2
        .value_kind:     hidden_group_size_y
      - .offset:         128
        .size:           2
        .value_kind:     hidden_group_size_z
      - .offset:         130
        .size:           2
        .value_kind:     hidden_remainder_x
      - .offset:         132
        .size:           2
        .value_kind:     hidden_remainder_y
      - .offset:         134
        .size:           2
        .value_kind:     hidden_remainder_z
      - .offset:         152
        .size:           8
        .value_kind:     hidden_global_offset_x
      - .offset:         160
        .size:           8
        .value_kind:     hidden_global_offset_y
      - .offset:         168
        .size:           8
        .value_kind:     hidden_global_offset_z
      - .offset:         176
        .size:           2
        .value_kind:     hidden_grid_dims
    .group_segment_fixed_size: 0
    .kernarg_segment_align: 8
    .kernarg_segment_size: 368
    .language:       OpenCL C
    .language_version:
      - 2
      - 0
    .max_flat_workgroup_size: 1024
    .name:           _ZN9rocsparseL19csxsldu_fill_kernelILj1024EL20rocsparse_diag_type_1ELS1_0E21rocsparse_complex_numIdEiiEEvT4_PKT3_PKS4_PKT2_21rocsparse_index_base_S7_PS4_PSA_SD_S7_SE_SF_SD_SF_
    .private_segment_fixed_size: 0
    .sgpr_count:     30
    .sgpr_spill_count: 0
    .symbol:         _ZN9rocsparseL19csxsldu_fill_kernelILj1024EL20rocsparse_diag_type_1ELS1_0E21rocsparse_complex_numIdEiiEEvT4_PKT3_PKS4_PKT2_21rocsparse_index_base_S7_PS4_PSA_SD_S7_SE_SF_SD_SF_.kd
    .uniform_work_group_size: 1
    .uses_dynamic_stack: false
    .vgpr_count:     18
    .vgpr_spill_count: 0
    .wavefront_size: 64
  - .agpr_count:     0
    .args:
      - .offset:         0
        .size:           4
        .value_kind:     by_value
      - .address_space:  global
        .offset:         8
        .size:           8
        .value_kind:     global_buffer
      - .address_space:  global
        .offset:         16
        .size:           8
        .value_kind:     global_buffer
      - .address_space:  global
        .offset:         24
        .size:           8
        .value_kind:     global_buffer
      - .offset:         32
        .size:           4
        .value_kind:     by_value
      - .address_space:  global
        .offset:         40
        .size:           8
        .value_kind:     global_buffer
      - .address_space:  global
        .offset:         48
        .size:           8
        .value_kind:     global_buffer
      - .address_space:  global
        .offset:         56
        .size:           8
        .value_kind:     global_buffer
      - .offset:         64
        .size:           4
        .value_kind:     by_value
      - .address_space:  global
        .offset:         72
        .size:           8
        .value_kind:     global_buffer
      - .address_space:  global
        .offset:         80
        .size:           8
        .value_kind:     global_buffer
      - .address_space:  global
        .offset:         88
        .size:           8
        .value_kind:     global_buffer
      - .offset:         96
        .size:           4
        .value_kind:     by_value
      - .address_space:  global
        .offset:         104
        .size:           8
        .value_kind:     global_buffer
      - .offset:         112
        .size:           4
        .value_kind:     hidden_block_count_x
      - .offset:         116
        .size:           4
        .value_kind:     hidden_block_count_y
      - .offset:         120
        .size:           4
        .value_kind:     hidden_block_count_z
      - .offset:         124
        .size:           2
        .value_kind:     hidden_group_size_x
      - .offset:         126
        .size:           2
        .value_kind:     hidden_group_size_y
      - .offset:         128
        .size:           2
        .value_kind:     hidden_group_size_z
      - .offset:         130
        .size:           2
        .value_kind:     hidden_remainder_x
      - .offset:         132
        .size:           2
        .value_kind:     hidden_remainder_y
      - .offset:         134
        .size:           2
        .value_kind:     hidden_remainder_z
      - .offset:         152
        .size:           8
        .value_kind:     hidden_global_offset_x
      - .offset:         160
        .size:           8
        .value_kind:     hidden_global_offset_y
      - .offset:         168
        .size:           8
        .value_kind:     hidden_global_offset_z
      - .offset:         176
        .size:           2
        .value_kind:     hidden_grid_dims
    .group_segment_fixed_size: 0
    .kernarg_segment_align: 8
    .kernarg_segment_size: 368
    .language:       OpenCL C
    .language_version:
      - 2
      - 0
    .max_flat_workgroup_size: 1024
    .name:           _ZN9rocsparseL19csxsldu_fill_kernelILj1024EL20rocsparse_diag_type_1ELS1_1E21rocsparse_complex_numIdEiiEEvT4_PKT3_PKS4_PKT2_21rocsparse_index_base_S7_PS4_PSA_SD_S7_SE_SF_SD_SF_
    .private_segment_fixed_size: 0
    .sgpr_count:     34
    .sgpr_spill_count: 0
    .symbol:         _ZN9rocsparseL19csxsldu_fill_kernelILj1024EL20rocsparse_diag_type_1ELS1_1E21rocsparse_complex_numIdEiiEEvT4_PKT3_PKS4_PKT2_21rocsparse_index_base_S7_PS4_PSA_SD_S7_SE_SF_SD_SF_.kd
    .uniform_work_group_size: 1
    .uses_dynamic_stack: false
    .vgpr_count:     22
    .vgpr_spill_count: 0
    .wavefront_size: 64
  - .agpr_count:     0
    .args:
      - .offset:         0
        .size:           4
        .value_kind:     by_value
      - .address_space:  global
        .offset:         8
        .size:           8
        .value_kind:     global_buffer
      - .address_space:  global
        .offset:         16
        .size:           8
        .value_kind:     global_buffer
      - .address_space:  global
        .offset:         24
        .size:           8
        .value_kind:     global_buffer
      - .offset:         32
        .size:           4
        .value_kind:     by_value
      - .address_space:  global
        .offset:         40
        .size:           8
        .value_kind:     global_buffer
      - .address_space:  global
        .offset:         48
        .size:           8
        .value_kind:     global_buffer
      - .address_space:  global
        .offset:         56
        .size:           8
        .value_kind:     global_buffer
      - .offset:         64
        .size:           4
        .value_kind:     by_value
      - .address_space:  global
        .offset:         72
        .size:           8
        .value_kind:     global_buffer
      - .address_space:  global
        .offset:         80
        .size:           8
        .value_kind:     global_buffer
      - .address_space:  global
        .offset:         88
        .size:           8
        .value_kind:     global_buffer
      - .offset:         96
        .size:           4
        .value_kind:     by_value
      - .address_space:  global
        .offset:         104
        .size:           8
        .value_kind:     global_buffer
      - .offset:         112
        .size:           4
        .value_kind:     hidden_block_count_x
      - .offset:         116
        .size:           4
        .value_kind:     hidden_block_count_y
      - .offset:         120
        .size:           4
        .value_kind:     hidden_block_count_z
      - .offset:         124
        .size:           2
        .value_kind:     hidden_group_size_x
      - .offset:         126
        .size:           2
        .value_kind:     hidden_group_size_y
      - .offset:         128
        .size:           2
        .value_kind:     hidden_group_size_z
      - .offset:         130
        .size:           2
        .value_kind:     hidden_remainder_x
      - .offset:         132
        .size:           2
        .value_kind:     hidden_remainder_y
      - .offset:         134
        .size:           2
        .value_kind:     hidden_remainder_z
      - .offset:         152
        .size:           8
        .value_kind:     hidden_global_offset_x
      - .offset:         160
        .size:           8
        .value_kind:     hidden_global_offset_y
      - .offset:         168
        .size:           8
        .value_kind:     hidden_global_offset_z
      - .offset:         176
        .size:           2
        .value_kind:     hidden_grid_dims
    .group_segment_fixed_size: 0
    .kernarg_segment_align: 8
    .kernarg_segment_size: 368
    .language:       OpenCL C
    .language_version:
      - 2
      - 0
    .max_flat_workgroup_size: 1024
    .name:           _ZN9rocsparseL19csxsldu_fill_kernelILj1024EL20rocsparse_diag_type_0ELS1_1E21rocsparse_complex_numIdEiiEEvT4_PKT3_PKS4_PKT2_21rocsparse_index_base_S7_PS4_PSA_SD_S7_SE_SF_SD_SF_
    .private_segment_fixed_size: 0
    .sgpr_count:     30
    .sgpr_spill_count: 0
    .symbol:         _ZN9rocsparseL19csxsldu_fill_kernelILj1024EL20rocsparse_diag_type_0ELS1_1E21rocsparse_complex_numIdEiiEEvT4_PKT3_PKS4_PKT2_21rocsparse_index_base_S7_PS4_PSA_SD_S7_SE_SF_SD_SF_.kd
    .uniform_work_group_size: 1
    .uses_dynamic_stack: false
    .vgpr_count:     18
    .vgpr_spill_count: 0
    .wavefront_size: 64
amdhsa.target:   amdgcn-amd-amdhsa--gfx90a
amdhsa.version:
  - 1
  - 2
...

	.end_amdgpu_metadata
